;; amdgpu-corpus repo=ROCm/rocFFT kind=compiled arch=gfx950 opt=O3
	.text
	.amdgcn_target "amdgcn-amd-amdhsa--gfx950"
	.amdhsa_code_object_version 6
	.protected	fft_rtc_back_len910_factors_13_2_7_5_wgs_182_tpt_91_sp_ip_CI_unitstride_sbrr_C2R_dirReg ; -- Begin function fft_rtc_back_len910_factors_13_2_7_5_wgs_182_tpt_91_sp_ip_CI_unitstride_sbrr_C2R_dirReg
	.globl	fft_rtc_back_len910_factors_13_2_7_5_wgs_182_tpt_91_sp_ip_CI_unitstride_sbrr_C2R_dirReg
	.p2align	8
	.type	fft_rtc_back_len910_factors_13_2_7_5_wgs_182_tpt_91_sp_ip_CI_unitstride_sbrr_C2R_dirReg,@function
fft_rtc_back_len910_factors_13_2_7_5_wgs_182_tpt_91_sp_ip_CI_unitstride_sbrr_C2R_dirReg: ; @fft_rtc_back_len910_factors_13_2_7_5_wgs_182_tpt_91_sp_ip_CI_unitstride_sbrr_C2R_dirReg
; %bb.0:
	s_load_dwordx2 s[8:9], s[0:1], 0x50
	s_load_dwordx4 s[4:7], s[0:1], 0x0
	s_load_dwordx2 s[10:11], s[0:1], 0x18
	v_mul_u32_u24_e32 v1, 0x2d1, v0
	v_lshrrev_b32_e32 v1, 16, v1
	v_lshl_add_u32 v6, s2, 1, v1
	v_mov_b32_e32 v4, 0
	s_waitcnt lgkmcnt(0)
	v_cmp_lt_u64_e64 s[2:3], s[6:7], 2
	v_mov_b32_e32 v7, v4
	s_and_b64 vcc, exec, s[2:3]
	v_mov_b64_e32 v[2:3], 0
	s_cbranch_vccnz .LBB0_8
; %bb.1:
	s_load_dwordx2 s[2:3], s[0:1], 0x10
	s_add_u32 s12, s10, 8
	s_addc_u32 s13, s11, 0
	s_mov_b64 s[14:15], 1
	v_mov_b64_e32 v[2:3], 0
	s_waitcnt lgkmcnt(0)
	s_add_u32 s16, s2, 8
	s_addc_u32 s17, s3, 0
.LBB0_2:                                ; =>This Inner Loop Header: Depth=1
	s_load_dwordx2 s[18:19], s[16:17], 0x0
                                        ; implicit-def: $vgpr8_vgpr9
	s_waitcnt lgkmcnt(0)
	v_or_b32_e32 v5, s19, v7
	v_cmp_ne_u64_e32 vcc, 0, v[4:5]
	s_and_saveexec_b64 s[2:3], vcc
	s_xor_b64 s[20:21], exec, s[2:3]
	s_cbranch_execz .LBB0_4
; %bb.3:                                ;   in Loop: Header=BB0_2 Depth=1
	v_cvt_f32_u32_e32 v5, s18
	v_cvt_f32_u32_e32 v8, s19
	s_sub_u32 s2, 0, s18
	s_subb_u32 s3, 0, s19
	v_fmac_f32_e32 v5, 0x4f800000, v8
	v_rcp_f32_e32 v5, v5
	s_nop 0
	v_mul_f32_e32 v5, 0x5f7ffffc, v5
	v_mul_f32_e32 v8, 0x2f800000, v5
	v_trunc_f32_e32 v8, v8
	v_fmac_f32_e32 v5, 0xcf800000, v8
	v_cvt_u32_f32_e32 v12, v8
	v_cvt_u32_f32_e32 v5, v5
	v_mul_lo_u32 v8, s2, v12
	v_mul_hi_u32 v10, s2, v5
	v_mul_lo_u32 v9, s3, v5
	v_add_u32_e32 v10, v10, v8
	v_mul_lo_u32 v13, s2, v5
	v_add_u32_e32 v14, v10, v9
	v_mul_hi_u32 v8, v5, v13
	v_mul_hi_u32 v11, v5, v14
	v_mul_lo_u32 v10, v5, v14
	v_mov_b32_e32 v9, v4
	v_lshl_add_u64 v[8:9], v[8:9], 0, v[10:11]
	v_mul_hi_u32 v11, v12, v13
	v_mul_lo_u32 v13, v12, v13
	v_add_co_u32_e32 v8, vcc, v8, v13
	v_mul_hi_u32 v10, v12, v14
	s_nop 0
	v_addc_co_u32_e32 v8, vcc, v9, v11, vcc
	v_mov_b32_e32 v9, v4
	s_nop 0
	v_addc_co_u32_e32 v11, vcc, 0, v10, vcc
	v_mul_lo_u32 v10, v12, v14
	v_lshl_add_u64 v[8:9], v[8:9], 0, v[10:11]
	v_add_co_u32_e32 v5, vcc, v5, v8
	v_mul_lo_u32 v10, s2, v5
	s_nop 0
	v_addc_co_u32_e32 v12, vcc, v12, v9, vcc
	v_mul_lo_u32 v8, s2, v12
	v_mul_hi_u32 v9, s2, v5
	v_add_u32_e32 v8, v9, v8
	v_mul_lo_u32 v9, s3, v5
	v_add_u32_e32 v13, v8, v9
	v_mul_hi_u32 v15, v12, v10
	v_mul_lo_u32 v16, v12, v10
	v_mul_hi_u32 v9, v5, v13
	v_mul_lo_u32 v8, v5, v13
	v_mul_hi_u32 v10, v5, v10
	v_mov_b32_e32 v11, v4
	v_lshl_add_u64 v[8:9], v[10:11], 0, v[8:9]
	v_add_co_u32_e32 v8, vcc, v8, v16
	v_mul_hi_u32 v14, v12, v13
	s_nop 0
	v_addc_co_u32_e32 v8, vcc, v9, v15, vcc
	v_mul_lo_u32 v10, v12, v13
	s_nop 0
	v_addc_co_u32_e32 v11, vcc, 0, v14, vcc
	v_mov_b32_e32 v9, v4
	v_lshl_add_u64 v[8:9], v[8:9], 0, v[10:11]
	v_add_co_u32_e32 v5, vcc, v5, v8
	v_mul_hi_u32 v10, v6, v5
	s_nop 0
	v_addc_co_u32_e32 v12, vcc, v12, v9, vcc
	v_mad_u64_u32 v[8:9], s[2:3], v6, v12, 0
	v_mov_b32_e32 v11, v4
	v_lshl_add_u64 v[8:9], v[10:11], 0, v[8:9]
	v_mad_u64_u32 v[10:11], s[2:3], v7, v12, 0
	v_mad_u64_u32 v[12:13], s[2:3], v7, v5, 0
	v_add_co_u32_e32 v5, vcc, v8, v12
	s_nop 1
	v_addc_co_u32_e32 v8, vcc, v9, v13, vcc
	v_mov_b32_e32 v9, v4
	s_nop 0
	v_addc_co_u32_e32 v11, vcc, 0, v11, vcc
	v_lshl_add_u64 v[8:9], v[8:9], 0, v[10:11]
	v_mul_lo_u32 v5, s19, v8
	v_mul_lo_u32 v12, s18, v9
	v_mad_u64_u32 v[10:11], s[2:3], s18, v8, 0
	v_add3_u32 v5, v11, v12, v5
	v_sub_u32_e32 v11, v7, v5
	v_mov_b32_e32 v12, s19
	v_sub_co_u32_e32 v14, vcc, v6, v10
	s_nop 1
	v_subb_co_u32_e64 v10, s[2:3], v11, v12, vcc
	v_subrev_co_u32_e64 v11, s[2:3], s18, v14
	v_subb_co_u32_e32 v5, vcc, v7, v5, vcc
	s_nop 0
	v_subbrev_co_u32_e64 v10, s[2:3], 0, v10, s[2:3]
	v_cmp_le_u32_e64 s[2:3], s19, v10
	v_cmp_le_u32_e32 vcc, s19, v5
	s_nop 0
	v_cndmask_b32_e64 v12, 0, -1, s[2:3]
	v_cmp_le_u32_e64 s[2:3], s18, v11
	s_nop 1
	v_cndmask_b32_e64 v11, 0, -1, s[2:3]
	v_cmp_eq_u32_e64 s[2:3], s19, v10
	s_nop 1
	v_cndmask_b32_e64 v15, v12, v11, s[2:3]
	v_lshl_add_u64 v[10:11], v[8:9], 0, 2
	v_lshl_add_u64 v[12:13], v[8:9], 0, 1
	v_cmp_ne_u32_e64 s[2:3], 0, v15
	s_nop 1
	v_cndmask_b32_e64 v11, v13, v11, s[2:3]
	v_cndmask_b32_e64 v13, 0, -1, vcc
	v_cmp_le_u32_e32 vcc, s18, v14
	s_nop 1
	v_cndmask_b32_e64 v14, 0, -1, vcc
	v_cmp_eq_u32_e32 vcc, s19, v5
	s_nop 1
	v_cndmask_b32_e32 v5, v13, v14, vcc
	v_cmp_ne_u32_e32 vcc, 0, v5
	v_cndmask_b32_e64 v5, v12, v10, s[2:3]
	s_nop 0
	v_cndmask_b32_e32 v9, v9, v11, vcc
	v_cndmask_b32_e32 v8, v8, v5, vcc
.LBB0_4:                                ;   in Loop: Header=BB0_2 Depth=1
	s_andn2_saveexec_b64 s[2:3], s[20:21]
	s_cbranch_execz .LBB0_6
; %bb.5:                                ;   in Loop: Header=BB0_2 Depth=1
	v_cvt_f32_u32_e32 v5, s18
	s_sub_i32 s20, 0, s18
	v_rcp_iflag_f32_e32 v5, v5
	s_nop 0
	v_mul_f32_e32 v5, 0x4f7ffffe, v5
	v_cvt_u32_f32_e32 v5, v5
	v_mul_lo_u32 v8, s20, v5
	v_mul_hi_u32 v8, v5, v8
	v_add_u32_e32 v5, v5, v8
	v_mul_hi_u32 v5, v6, v5
	v_mul_lo_u32 v8, v5, s18
	v_sub_u32_e32 v8, v6, v8
	v_add_u32_e32 v9, 1, v5
	v_subrev_u32_e32 v10, s18, v8
	v_cmp_le_u32_e32 vcc, s18, v8
	s_nop 1
	v_cndmask_b32_e32 v8, v8, v10, vcc
	v_cndmask_b32_e32 v5, v5, v9, vcc
	v_add_u32_e32 v9, 1, v5
	v_cmp_le_u32_e32 vcc, s18, v8
	s_nop 1
	v_cndmask_b32_e32 v8, v5, v9, vcc
	v_mov_b32_e32 v9, v4
.LBB0_6:                                ;   in Loop: Header=BB0_2 Depth=1
	s_or_b64 exec, exec, s[2:3]
	v_mad_u64_u32 v[10:11], s[2:3], v8, s18, 0
	s_load_dwordx2 s[2:3], s[12:13], 0x0
	v_mul_lo_u32 v5, v9, s18
	v_mul_lo_u32 v12, v8, s19
	v_add3_u32 v5, v11, v12, v5
	v_sub_co_u32_e32 v6, vcc, v6, v10
	s_add_u32 s14, s14, 1
	s_nop 0
	v_subb_co_u32_e32 v5, vcc, v7, v5, vcc
	s_addc_u32 s15, s15, 0
	s_waitcnt lgkmcnt(0)
	v_mul_lo_u32 v5, s2, v5
	v_mul_lo_u32 v7, s3, v6
	v_mad_u64_u32 v[2:3], s[2:3], s2, v6, v[2:3]
	s_add_u32 s12, s12, 8
	v_add3_u32 v3, v7, v3, v5
	s_addc_u32 s13, s13, 0
	v_mov_b64_e32 v[6:7], s[6:7]
	s_add_u32 s16, s16, 8
	v_cmp_ge_u64_e32 vcc, s[14:15], v[6:7]
	s_addc_u32 s17, s17, 0
	s_cbranch_vccnz .LBB0_9
; %bb.7:                                ;   in Loop: Header=BB0_2 Depth=1
	v_mov_b64_e32 v[6:7], v[8:9]
	s_branch .LBB0_2
.LBB0_8:
	v_mov_b64_e32 v[8:9], v[6:7]
.LBB0_9:
	s_lshl_b64 s[2:3], s[6:7], 3
	s_add_u32 s2, s10, s2
	s_addc_u32 s3, s11, s3
	s_load_dwordx2 s[6:7], s[2:3], 0x0
	s_load_dwordx2 s[10:11], s[0:1], 0x20
	v_and_b32_e32 v1, 1, v1
	s_mov_b32 s2, 0x2d02d03
	v_cmp_eq_u32_e32 vcc, 1, v1
	s_waitcnt lgkmcnt(0)
	v_mul_lo_u32 v4, s6, v9
	v_mul_lo_u32 v5, s7, v8
	v_mad_u64_u32 v[2:3], s[0:1], s6, v8, v[2:3]
	v_add3_u32 v3, v5, v3, v4
	v_mov_b32_e32 v4, 0x38f
	v_mul_hi_u32 v1, v0, s2
	v_cndmask_b32_e32 v4, 0, v4, vcc
	v_mul_u32_u24_e32 v1, 0x5b, v1
	v_cmp_gt_u64_e64 s[0:1], s[10:11], v[8:9]
	v_sub_u32_e32 v32, v0, v1
	v_lshl_add_u64 v[30:31], v[2:3], 3, s[8:9]
	v_lshlrev_b32_e32 v150, 3, v4
	s_and_saveexec_b64 s[2:3], s[0:1]
	s_cbranch_execz .LBB0_13
; %bb.10:
	v_mov_b32_e32 v33, 0
	v_lshl_add_u64 v[0:1], v[32:33], 3, v[30:31]
	s_movk_i32 s6, 0x1000
	v_add_co_u32_e32 v12, vcc, s6, v0
	global_load_dwordx2 v[2:3], v[0:1], off
	global_load_dwordx2 v[6:7], v[0:1], off offset:728
	global_load_dwordx2 v[8:9], v[0:1], off offset:1456
	global_load_dwordx2 v[10:11], v[0:1], off offset:2184
	v_addc_co_u32_e32 v13, vcc, 0, v1, vcc
	global_load_dwordx2 v[14:15], v[0:1], off offset:2912
	global_load_dwordx2 v[16:17], v[0:1], off offset:3640
	;; [unrolled: 1-line block ×6, first 2 shown]
	v_lshlrev_b32_e32 v0, 3, v32
	s_movk_i32 s6, 0x5a
	v_add3_u32 v0, 0, v150, v0
	v_cmp_eq_u32_e32 vcc, s6, v32
	v_add_u32_e32 v1, 0x400, v0
	v_add_u32_e32 v5, 0x800, v0
	;; [unrolled: 1-line block ×4, first 2 shown]
	s_waitcnt vmcnt(8)
	ds_write2_b64 v0, v[2:3], v[6:7] offset1:91
	s_waitcnt vmcnt(6)
	ds_write2_b64 v1, v[8:9], v[10:11] offset0:54 offset1:145
	s_waitcnt vmcnt(4)
	ds_write2_b64 v5, v[14:15], v[16:17] offset0:108 offset1:199
	;; [unrolled: 2-line block ×4, first 2 shown]
	s_and_saveexec_b64 s[6:7], vcc
	s_cbranch_execz .LBB0_12
; %bb.11:
	v_add_co_u32_e32 v2, vcc, 0x1000, v30
	v_mov_b32_e32 v32, 0x5a
	s_nop 0
	v_addc_co_u32_e32 v3, vcc, 0, v31, vcc
	global_load_dwordx2 v[2:3], v[2:3], off offset:3184
	s_waitcnt vmcnt(0)
	ds_write_b64 v0, v[2:3] offset:6560
.LBB0_12:
	s_or_b64 exec, exec, s[6:7]
.LBB0_13:
	s_or_b64 exec, exec, s[2:3]
	v_lshl_add_u32 v148, v4, 3, 0
	v_lshlrev_b32_e32 v0, 3, v32
	v_add_u32_e32 v149, v148, v0
	s_waitcnt lgkmcnt(0)
	s_barrier
	v_sub_u32_e32 v5, v148, v0
	ds_read_b32 v1, v149
	ds_read_b32 v2, v5 offset:7280
	s_add_u32 s2, s4, 0x1c08
	s_addc_u32 s3, s5, 0
	v_cmp_ne_u32_e32 vcc, 0, v32
	s_waitcnt lgkmcnt(0)
	v_add_f32_e32 v0, v2, v1
	v_sub_f32_e32 v1, v1, v2
                                        ; implicit-def: $vgpr2_vgpr3
	s_and_saveexec_b64 s[6:7], vcc
	s_xor_b64 s[6:7], exec, s[6:7]
	s_cbranch_execz .LBB0_15
; %bb.14:
	v_mov_b32_e32 v33, 0
	v_lshl_add_u64 v[2:3], v[32:33], 3, s[2:3]
	global_load_dwordx2 v[6:7], v[2:3], off
	ds_read_b32 v11, v5 offset:7284
	ds_read_b32 v12, v149 offset:4
	v_mov_b32_e32 v8, v1
	v_mov_b32_e32 v10, v0
	;; [unrolled: 1-line block ×3, first 2 shown]
	v_mov_b64_e32 v[2:3], v[32:33]
	s_waitcnt lgkmcnt(0)
	v_add_f32_e32 v9, v11, v12
	v_sub_f32_e32 v11, v12, v11
	v_mov_b32_e32 v12, v9
	s_waitcnt vmcnt(0)
	v_pk_mul_f32 v[14:15], v[8:9], v[6:7] op_sel:[0,1]
	v_pk_fma_f32 v[8:9], v[8:9], v[6:7], v[10:11] op_sel:[0,1,0]
	v_mov_b32_e32 v1, v15
	v_mov_b32_e32 v15, v11
	v_pk_fma_f32 v[16:17], v[6:7], v[12:13], v[8:9] neg_lo:[1,0,0] neg_hi:[1,0,0]
	v_pk_fma_f32 v[8:9], v[6:7], v[12:13], v[8:9] op_sel_hi:[0,1,1]
	v_pk_add_f32 v[0:1], v[0:1], v[14:15] neg_lo:[0,1] neg_hi:[0,1]
	v_mov_b32_e32 v17, v9
	v_pk_fma_f32 v[0:1], v[6:7], v[12:13], v[0:1] op_sel_hi:[0,1,1]
	ds_write_b64 v5, v[0:1] offset:7280
	v_mov_b64_e32 v[0:1], v[16:17]
.LBB0_15:
	s_andn2_saveexec_b64 s[6:7], s[6:7]
	s_cbranch_execz .LBB0_17
; %bb.16:
	ds_read_b64 v[2:3], v148 offset:3640
	s_mov_b32 s8, 2.0
	s_mov_b32 s9, -2.0
	s_waitcnt lgkmcnt(0)
	v_pk_mul_f32 v[2:3], v[2:3], s[8:9]
	ds_write_b64 v148, v[2:3] offset:3640
	v_mov_b64_e32 v[2:3], 0
.LBB0_17:
	s_or_b64 exec, exec, s[6:7]
	v_lshl_add_u64 v[2:3], v[2:3], 3, s[2:3]
	global_load_dwordx2 v[6:7], v[2:3], off offset:728
	v_add_u32_e32 v34, 0xb6, v32
	v_mov_b32_e32 v35, 0
	v_lshl_add_u64 v[8:9], v[34:35], 3, s[2:3]
	global_load_dwordx2 v[8:9], v[8:9], off
	v_add_u32_e32 v36, 0x111, v32
	v_mov_b32_e32 v37, v35
	v_lshl_add_u64 v[10:11], v[36:37], 3, s[2:3]
	global_load_dwordx2 v[12:13], v[10:11], off
	global_load_dwordx2 v[14:15], v[2:3], off offset:2912
	ds_write_b64 v149, v[0:1]
	ds_read_b64 v[0:1], v149 offset:728
	ds_read_b64 v[2:3], v5 offset:6552
	v_lshl_add_u32 v20, v34, 3, v148
	v_lshl_add_u32 v154, v32, 3, 0
	;; [unrolled: 1-line block ×3, first 2 shown]
	v_add_u32_e32 v4, 0x1800, v33
	s_waitcnt lgkmcnt(0)
	v_pk_add_f32 v[10:11], v[0:1], v[2:3]
	v_pk_add_f32 v[0:1], v[0:1], v[2:3] neg_lo:[0,1] neg_hi:[0,1]
	v_mov_b32_e32 v2, v11
	v_mov_b32_e32 v3, v0
	;; [unrolled: 1-line block ×3, first 2 shown]
	v_add_u32_e32 v37, 0x400, v33
	s_mov_b32 s2, 0x3f116cb1
	v_add_u32_e32 v151, 0x1000, v33
	s_mov_b32 s3, 0xbf52af12
	s_mov_b32 s6, 0xbeb58ec6
	;; [unrolled: 1-line block ×5, first 2 shown]
	v_add_u32_e32 v153, 0x800, v33
	s_mov_b32 s20, s7
	s_mov_b32 s21, s6
	;; [unrolled: 1-line block ×3, first 2 shown]
	v_add_u32_e32 v152, 0xc00, v33
	s_mov_b32 s9, 0xbe750f2a
	s_mov_b32 s24, s9
	s_mov_b32 s25, s8
	s_mov_b32 s10, 0xbf3f9e67
	s_mov_b32 s11, 0x3f29c268
	s_mov_b32 s12, s11
	s_mov_b32 s13, s10
	s_mov_b32 s17, 0x3f7e222b
	s_mov_b32 s18, s17
	s_mov_b32 s28, s6
	s_mov_b32 s27, 0x3eedf032
	s_mov_b32 s34, s27
	s_mov_b32 s23, 0xbf29c268
	s_mov_b32 s36, s23
	s_mov_b32 s37, s10
	s_mov_b32 s22, s10
	s_waitcnt vmcnt(3)
	v_pk_mul_f32 v[16:17], v[2:3], v[6:7] op_sel:[0,1]
	s_nop 0
	v_pk_add_f32 v[18:19], v[10:11], v[16:17] op_sel:[0,1] op_sel_hi:[1,0]
	v_mov_b32_e32 v11, v16
	v_mov_b32_e32 v0, v17
	v_pk_fma_f32 v[16:17], v[6:7], v[2:3], v[18:19] neg_lo:[1,0,0] neg_hi:[1,0,0]
	v_pk_fma_f32 v[18:19], v[6:7], v[2:3], v[18:19] op_sel_hi:[0,1,1]
	v_pk_add_f32 v[0:1], v[10:11], v[0:1] neg_lo:[0,1] neg_hi:[0,1]
	v_mov_b32_e32 v17, v19
	v_pk_fma_f32 v[0:1], v[6:7], v[2:3], v[0:1] op_sel_hi:[0,1,1]
	ds_write_b64 v149, v[16:17] offset:728
	ds_write_b64 v5, v[0:1] offset:6552
	ds_read_b64 v[0:1], v5 offset:5824
	ds_read_b64 v[2:3], v20
	v_lshl_add_u32 v18, v36, 3, v148
	s_waitcnt lgkmcnt(0)
	v_pk_add_f32 v[6:7], v[2:3], v[0:1]
	v_pk_add_f32 v[0:1], v[2:3], v[0:1] neg_lo:[0,1] neg_hi:[0,1]
	v_mov_b32_e32 v2, v7
	v_mov_b32_e32 v3, v0
	;; [unrolled: 1-line block ×3, first 2 shown]
	s_waitcnt vmcnt(2)
	v_pk_mul_f32 v[10:11], v[2:3], v[8:9] op_sel:[0,1]
	s_nop 0
	v_pk_add_f32 v[16:17], v[6:7], v[10:11] op_sel:[0,1] op_sel_hi:[1,0]
	v_mov_b32_e32 v7, v10
	v_mov_b32_e32 v0, v11
	v_pk_fma_f32 v[10:11], v[8:9], v[2:3], v[16:17] neg_lo:[1,0,0] neg_hi:[1,0,0]
	v_pk_fma_f32 v[16:17], v[8:9], v[2:3], v[16:17] op_sel_hi:[0,1,1]
	v_pk_add_f32 v[0:1], v[6:7], v[0:1] neg_lo:[0,1] neg_hi:[0,1]
	v_mov_b32_e32 v11, v17
	v_pk_fma_f32 v[0:1], v[8:9], v[2:3], v[0:1] op_sel_hi:[0,1,1]
	ds_write_b64 v20, v[10:11]
	ds_write_b64 v5, v[0:1] offset:5824
	ds_read_b64 v[0:1], v5 offset:5096
	ds_read_b64 v[2:3], v18
	s_waitcnt lgkmcnt(0)
	v_pk_add_f32 v[6:7], v[2:3], v[0:1]
	v_pk_add_f32 v[0:1], v[2:3], v[0:1] neg_lo:[0,1] neg_hi:[0,1]
	v_mov_b32_e32 v2, v7
	v_mov_b32_e32 v3, v0
	;; [unrolled: 1-line block ×3, first 2 shown]
	s_waitcnt vmcnt(1)
	v_pk_mul_f32 v[8:9], v[2:3], v[12:13] op_sel:[0,1]
	s_nop 0
	v_pk_add_f32 v[10:11], v[6:7], v[8:9] op_sel:[0,1] op_sel_hi:[1,0]
	v_mov_b32_e32 v7, v8
	v_mov_b32_e32 v0, v9
	v_pk_fma_f32 v[8:9], v[12:13], v[2:3], v[10:11] neg_lo:[1,0,0] neg_hi:[1,0,0]
	v_pk_fma_f32 v[10:11], v[12:13], v[2:3], v[10:11] op_sel_hi:[0,1,1]
	v_pk_add_f32 v[0:1], v[6:7], v[0:1] neg_lo:[0,1] neg_hi:[0,1]
	v_mov_b32_e32 v9, v11
	v_pk_fma_f32 v[0:1], v[12:13], v[2:3], v[0:1] op_sel_hi:[0,1,1]
	ds_write_b64 v18, v[8:9]
	ds_write_b64 v5, v[0:1] offset:5096
	ds_read_b64 v[0:1], v5 offset:4368
	ds_read_b64 v[2:3], v149 offset:2912
	s_waitcnt lgkmcnt(0)
	v_pk_add_f32 v[6:7], v[2:3], v[0:1]
	v_pk_add_f32 v[0:1], v[2:3], v[0:1] neg_lo:[0,1] neg_hi:[0,1]
	v_mov_b32_e32 v2, v7
	v_mov_b32_e32 v3, v0
	;; [unrolled: 1-line block ×3, first 2 shown]
	s_waitcnt vmcnt(0)
	v_pk_mul_f32 v[8:9], v[2:3], v[14:15] op_sel:[0,1]
	s_nop 0
	v_pk_add_f32 v[10:11], v[6:7], v[8:9] op_sel:[0,1] op_sel_hi:[1,0]
	v_mov_b32_e32 v7, v8
	v_mov_b32_e32 v0, v9
	v_pk_fma_f32 v[8:9], v[14:15], v[2:3], v[10:11] neg_lo:[1,0,0] neg_hi:[1,0,0]
	v_pk_fma_f32 v[10:11], v[14:15], v[2:3], v[10:11] op_sel_hi:[0,1,1]
	v_pk_add_f32 v[0:1], v[6:7], v[0:1] neg_lo:[0,1] neg_hi:[0,1]
	v_mov_b32_e32 v9, v11
	v_pk_fma_f32 v[0:1], v[14:15], v[2:3], v[0:1] op_sel_hi:[0,1,1]
	ds_write_b64 v149, v[8:9] offset:2912
	ds_write_b64 v5, v[0:1] offset:4368
	s_waitcnt lgkmcnt(0)
	s_barrier
	s_barrier
	ds_read2_b64 v[6:9], v4 offset0:2 offset1:72
	ds_read2_b64 v[18:21], v33 offset0:70 offset1:140
	;; [unrolled: 1-line block ×4, first 2 shown]
	ds_read_b64 v[38:39], v149
	ds_read2_b64 v[26:29], v153 offset0:94 offset1:164
	ds_read2_b64 v[22:25], v152 offset0:106 offset1:176
	s_waitcnt lgkmcnt(0)
	s_barrier
	v_pk_add_f32 v[44:45], v[8:9], v[18:19]
	v_pk_add_f32 v[46:47], v[18:19], v[8:9] neg_lo:[0,1] neg_hi:[0,1]
	v_pk_add_f32 v[42:43], v[6:7], v[20:21]
	v_pk_add_f32 v[48:49], v[20:21], v[6:7] neg_lo:[0,1] neg_hi:[0,1]
	v_mov_b32_e32 v4, v47
	v_mov_b32_e32 v5, v45
	;; [unrolled: 1-line block ×6, first 2 shown]
	v_pk_mul_f32 v[66:67], v[4:5], s[14:15]
	v_pk_add_f32 v[40:41], v[12:13], v[14:15]
	v_mov_b32_e32 v80, v42
	v_mov_b32_e32 v81, v48
	v_pk_mul_f32 v[60:61], v[122:123], s[20:21]
	v_pk_fma_f32 v[64:65], v[78:79], s[2:3], v[66:67]
	v_pk_fma_f32 v[0:1], v[78:79], s[2:3], v[66:67] neg_lo:[0,0,1] neg_hi:[0,0,1]
	v_pk_add_f32 v[52:53], v[14:15], v[12:13] neg_lo:[0,1] neg_hi:[0,1]
	v_pk_fma_f32 v[62:63], v[80:81], s[6:7], v[60:61]
	v_pk_fma_f32 v[2:3], v[80:81], s[6:7], v[60:61] neg_lo:[0,0,1] neg_hi:[0,0,1]
	v_mov_b32_e32 v1, v65
	v_mov_b32_e32 v130, v53
	;; [unrolled: 1-line block ×4, first 2 shown]
	v_pk_add_f32 v[0:1], v[38:39], v[0:1]
	v_mov_b32_e32 v84, v40
	v_mov_b32_e32 v85, v52
	v_pk_mul_f32 v[68:69], v[130:131], s[24:25]
	v_pk_add_f32 v[50:51], v[10:11], v[16:17]
	v_pk_add_f32 v[54:55], v[16:17], v[10:11] neg_lo:[0,1] neg_hi:[0,1]
	v_pk_add_f32 v[0:1], v[2:3], v[0:1]
	v_pk_fma_f32 v[70:71], v[84:85], s[8:9], v[68:69]
	v_pk_fma_f32 v[2:3], v[84:85], s[8:9], v[68:69] neg_lo:[0,0,1] neg_hi:[0,0,1]
	v_mov_b32_e32 v132, v55
	v_mov_b32_e32 v133, v51
	;; [unrolled: 1-line block ×5, first 2 shown]
	v_pk_mul_f32 v[72:73], v[132:133], s[12:13]
	s_mov_b32 s12, 0x3df6dbef
	v_pk_add_f32 v[56:57], v[24:25], v[26:27]
	v_pk_add_f32 v[58:59], v[26:27], v[24:25] neg_lo:[0,1] neg_hi:[0,1]
	v_pk_add_f32 v[0:1], v[2:3], v[0:1]
	v_pk_fma_f32 v[74:75], v[86:87], s[10:11], v[72:73]
	v_pk_fma_f32 v[2:3], v[86:87], s[10:11], v[72:73] neg_lo:[0,0,1] neg_hi:[0,0,1]
	s_mov_b32 s13, 0xbf7e222b
	v_mov_b32_e32 v136, v59
	v_mov_b32_e32 v137, v57
	s_mov_b32 s19, s12
	v_mov_b32_e32 v3, v75
	v_mov_b32_e32 v112, v56
	;; [unrolled: 1-line block ×3, first 2 shown]
	s_mov_b32 s16, s12
	v_pk_mul_f32 v[90:91], v[136:137], s[18:19]
	v_pk_add_f32 v[0:1], v[2:3], v[0:1]
	v_pk_fma_f32 v[88:89], v[112:113], s[16:17], v[90:91]
	v_pk_fma_f32 v[2:3], v[112:113], s[16:17], v[90:91] neg_lo:[0,0,1] neg_hi:[0,0,1]
	s_mov_b32 s30, s13
	s_mov_b32 s31, s12
	v_mov_b32_e32 v3, v89
	v_pk_mul_f32 v[96:97], v[4:5], s[30:31]
	v_pk_add_f32 v[0:1], v[2:3], v[0:1]
	v_pk_fma_f32 v[92:93], v[78:79], s[12:13], v[96:97]
	v_pk_fma_f32 v[2:3], v[78:79], s[12:13], v[96:97] neg_lo:[0,0,1] neg_hi:[0,0,1]
	v_pk_mul_f32 v[98:99], v[122:123], s[24:25]
	v_mov_b32_e32 v3, v93
	v_pk_fma_f32 v[94:95], v[80:81], s[8:9], v[98:99]
	v_pk_fma_f32 v[76:77], v[80:81], s[8:9], v[98:99] neg_lo:[0,0,1] neg_hi:[0,0,1]
	s_mov_b32 s18, 0x3f6f5d39
	s_mov_b32 s19, s6
	v_mov_b32_e32 v77, v95
	v_pk_add_f32 v[2:3], v[38:39], v[2:3]
	s_mov_b32 s29, s18
	v_pk_mul_f32 v[102:103], v[130:131], s[18:19]
	s_mov_b32 s18, 0x3f62ad3f
	v_pk_add_f32 v[2:3], v[76:77], v[2:3]
	v_pk_fma_f32 v[100:101], v[84:85], s[28:29], v[102:103]
	v_pk_fma_f32 v[76:77], v[84:85], s[28:29], v[102:103] neg_lo:[0,0,1] neg_hi:[0,0,1]
	s_mov_b32 s35, s18
	v_mov_b32_e32 v77, v101
	s_mov_b32 s26, s18
	v_pk_mul_f32 v[108:109], v[132:133], s[34:35]
	v_pk_add_f32 v[2:3], v[76:77], v[2:3]
	v_pk_fma_f32 v[104:105], v[86:87], s[26:27], v[108:109]
	v_pk_fma_f32 v[76:77], v[86:87], s[26:27], v[108:109] neg_lo:[0,0,1] neg_hi:[0,0,1]
	v_pk_mul_f32 v[110:111], v[136:137], s[14:15]
	v_mov_b32_e32 v77, v105
	v_pk_add_f32 v[2:3], v[76:77], v[2:3]
	v_pk_fma_f32 v[106:107], v[112:113], s[2:3], v[110:111]
	v_pk_fma_f32 v[76:77], v[112:113], s[2:3], v[110:111] neg_lo:[0,0,1] neg_hi:[0,0,1]
	v_pk_add_f32 v[82:83], v[28:29], v[22:23] neg_lo:[0,1] neg_hi:[0,1]
	v_mov_b32_e32 v77, v107
	v_pk_add_f32 v[124:125], v[76:77], v[2:3]
	v_pk_add_f32 v[76:77], v[22:23], v[28:29]
	v_mov_b32_e32 v140, v83
	v_mov_b32_e32 v141, v77
	;; [unrolled: 1-line block ×4, first 2 shown]
	v_pk_mul_f32 v[120:121], v[140:141], s[34:35]
	v_pk_mul_f32 v[116:117], v[140:141], s[36:37]
	v_pk_fma_f32 v[118:119], v[146:147], s[26:27], v[120:121]
	v_pk_fma_f32 v[2:3], v[146:147], s[26:27], v[120:121] neg_lo:[0,0,1] neg_hi:[0,0,1]
	v_pk_fma_f32 v[114:115], v[146:147], s[22:23], v[116:117]
	v_mov_b32_e32 v3, v119
	v_pk_add_f32 v[2:3], v[2:3], v[0:1]
	v_pk_fma_f32 v[0:1], v[146:147], s[22:23], v[116:117] neg_lo:[0,0,1] neg_hi:[0,0,1]
	s_mov_b32 s34, 0xbeedf032
	v_mov_b32_e32 v1, v115
	v_pk_mul_f32 v[126:127], v[4:5], s[34:35]
	s_mov_b32 s19, s34
	v_pk_add_f32 v[0:1], v[0:1], v[124:125]
	v_pk_fma_f32 v[124:125], v[78:79], s[18:19], v[126:127]
	v_pk_fma_f32 v[4:5], v[78:79], s[18:19], v[126:127] neg_lo:[0,0,1] neg_hi:[0,0,1]
	v_pk_mul_f32 v[128:129], v[122:123], s[14:15]
	v_mov_b32_e32 v5, v125
	v_pk_fma_f32 v[122:123], v[80:81], s[2:3], v[128:129]
	v_pk_fma_f32 v[134:135], v[80:81], s[2:3], v[128:129] neg_lo:[0,0,1] neg_hi:[0,0,1]
	v_pk_add_f32 v[4:5], v[38:39], v[4:5]
	v_mov_b32_e32 v135, v123
	v_pk_add_f32 v[4:5], v[134:135], v[4:5]
	v_pk_mul_f32 v[134:135], v[130:131], s[30:31]
	s_movk_i32 s14, 0x46
	v_pk_fma_f32 v[130:131], v[84:85], s[12:13], v[134:135]
	v_pk_fma_f32 v[138:139], v[84:85], s[12:13], v[134:135] neg_lo:[0,0,1] neg_hi:[0,0,1]
	v_cmp_gt_u32_e32 vcc, s14, v32
	v_mov_b32_e32 v139, v131
	v_pk_add_f32 v[4:5], v[138:139], v[4:5]
	v_pk_mul_f32 v[138:139], v[132:133], s[20:21]
	s_nop 0
	v_pk_fma_f32 v[132:133], v[86:87], s[6:7], v[138:139]
	v_pk_fma_f32 v[142:143], v[86:87], s[6:7], v[138:139] neg_lo:[0,0,1] neg_hi:[0,0,1]
	s_nop 0
	v_mov_b32_e32 v143, v133
	v_pk_add_f32 v[4:5], v[142:143], v[4:5]
	v_pk_mul_f32 v[142:143], v[136:137], s[36:37]
	s_nop 0
	v_pk_fma_f32 v[136:137], v[112:113], s[22:23], v[142:143]
	v_pk_fma_f32 v[144:145], v[112:113], s[22:23], v[142:143] neg_lo:[0,0,1] neg_hi:[0,0,1]
	s_nop 0
	;; [unrolled: 7-line block ×3, first 2 shown]
	v_mov_b32_e32 v157, v141
	v_pk_add_f32 v[4:5], v[156:157], v[4:5]
	s_and_saveexec_b64 s[14:15], vcc
	s_cbranch_execz .LBB0_19
; %bb.18:
	v_pk_add_f32 v[18:19], v[38:39], v[18:19]
	v_pk_mul_f32 v[164:165], v[78:79], s[18:19]
	v_pk_add_f32 v[18:19], v[18:19], v[20:21]
	v_pk_mul_f32 v[166:167], v[80:81], s[2:3]
	;; [unrolled: 2-line block ×8, first 2 shown]
	v_pk_add_f32 v[10:11], v[14:15], v[10:11]
	v_mul_u32_u24_e32 v14, 0x60, v32
	v_pk_add_f32 v[10:11], v[10:11], v[12:13]
	v_add3_u32 v154, v154, v14, v150
	v_pk_add_f32 v[6:7], v[10:11], v[6:7]
	v_pk_add_f32 v[10:11], v[128:129], v[166:167] neg_lo:[0,1] neg_hi:[0,1]
	v_pk_add_f32 v[6:7], v[6:7], v[8:9]
	v_pk_add_f32 v[8:9], v[126:127], v[164:165] neg_lo:[0,1] neg_hi:[0,1]
	v_mov_b32_e32 v123, v11
	v_mov_b32_e32 v125, v9
	v_pk_add_f32 v[8:9], v[38:39], v[124:125]
	v_pk_add_f32 v[10:11], v[134:135], v[168:169] neg_lo:[0,1] neg_hi:[0,1]
	v_pk_add_f32 v[8:9], v[122:123], v[8:9]
	v_mov_b32_e32 v131, v11
	v_pk_add_f32 v[10:11], v[138:139], v[170:171] neg_lo:[0,1] neg_hi:[0,1]
	v_pk_add_f32 v[8:9], v[130:131], v[8:9]
	v_mov_b32_e32 v133, v11
	;; [unrolled: 3-line block ×4, first 2 shown]
	v_pk_add_f32 v[8:9], v[140:141], v[8:9]
	ds_write2_b64 v154, v[6:7], v[8:9] offset1:1
	v_pk_add_f32 v[8:9], v[60:61], v[158:159] neg_lo:[0,1] neg_hi:[0,1]
	v_pk_mul_f32 v[162:163], v[86:87], s[10:11]
	v_mov_b32_e32 v63, v9
	v_pk_add_f32 v[8:9], v[68:69], v[160:161] neg_lo:[0,1] neg_hi:[0,1]
	v_pk_mul_f32 v[16:17], v[112:113], s[16:17]
	v_mov_b32_e32 v71, v9
	;; [unrolled: 3-line block ×3, first 2 shown]
	v_pk_add_f32 v[8:9], v[90:91], v[16:17] neg_lo:[0,1] neg_hi:[0,1]
	v_pk_mul_f32 v[156:157], v[78:79], s[2:3]
	v_pk_mul_f32 v[78:79], v[78:79], s[12:13]
	v_mov_b32_e32 v89, v9
	v_pk_add_f32 v[8:9], v[120:121], v[18:19] neg_lo:[0,1] neg_hi:[0,1]
	v_pk_mul_f32 v[80:81], v[80:81], s[8:9]
	v_pk_add_f32 v[6:7], v[66:67], v[156:157] neg_lo:[0,1] neg_hi:[0,1]
	v_mov_b32_e32 v119, v9
	v_pk_add_f32 v[8:9], v[96:97], v[78:79] neg_lo:[0,1] neg_hi:[0,1]
	v_pk_mul_f32 v[84:85], v[84:85], s[28:29]
	v_mov_b32_e32 v65, v7
	v_mov_b32_e32 v93, v9
	v_pk_add_f32 v[10:11], v[98:99], v[80:81] neg_lo:[0,1] neg_hi:[0,1]
	v_pk_mul_f32 v[86:87], v[86:87], s[26:27]
	v_pk_add_f32 v[6:7], v[38:39], v[64:65]
	v_pk_add_f32 v[8:9], v[38:39], v[92:93]
	v_mov_b32_e32 v95, v11
	v_pk_add_f32 v[10:11], v[102:103], v[84:85] neg_lo:[0,1] neg_hi:[0,1]
	v_pk_mul_f32 v[112:113], v[112:113], s[2:3]
	v_pk_add_f32 v[6:7], v[62:63], v[6:7]
	v_pk_add_f32 v[8:9], v[94:95], v[8:9]
	;; [unrolled: 5-line block ×3, first 2 shown]
	v_mov_b32_e32 v105, v11
	v_pk_add_f32 v[10:11], v[110:111], v[112:113] neg_lo:[0,1] neg_hi:[0,1]
	v_pk_add_f32 v[6:7], v[74:75], v[6:7]
	v_pk_add_f32 v[8:9], v[104:105], v[8:9]
	v_mov_b32_e32 v107, v11
	v_pk_add_f32 v[10:11], v[116:117], v[146:147] neg_lo:[0,1] neg_hi:[0,1]
	s_mov_b32 s16, s7
	v_pk_add_f32 v[6:7], v[88:89], v[6:7]
	v_pk_add_f32 v[8:9], v[106:107], v[8:9]
	v_mov_b32_e32 v115, v11
	v_pk_mul_f32 v[26:27], v[46:47], s[16:17] op_sel_hi:[1,0]
	s_mov_b32 s20, s11
	v_pk_add_f32 v[6:7], v[118:119], v[6:7]
	v_pk_add_f32 v[8:9], v[114:115], v[8:9]
	v_pk_mul_f32 v[28:29], v[48:49], s[20:21] op_sel_hi:[1,0]
	ds_write2_b64 v154, v[6:7], v[8:9] offset0:2 offset1:3
	v_pk_fma_f32 v[6:7], v[44:45], s[6:7], v[26:27] op_sel:[0,0,1] op_sel_hi:[1,0,0]
	v_pk_fma_f32 v[8:9], v[44:45], s[6:7], v[26:27] op_sel:[0,0,1] op_sel_hi:[1,0,0] neg_lo:[0,0,1] neg_hi:[0,0,1]
	s_mov_b32 s20, s27
	v_mov_b32_e32 v10, v6
	v_mov_b32_e32 v11, v9
	v_pk_fma_f32 v[16:17], v[42:43], s[10:11], v[28:29] op_sel:[0,0,1] op_sel_hi:[1,0,0]
	v_pk_fma_f32 v[18:19], v[42:43], s[10:11], v[28:29] op_sel:[0,0,1] op_sel_hi:[1,0,0] neg_lo:[0,0,1] neg_hi:[0,0,1]
	v_pk_mul_f32 v[22:23], v[52:53], s[20:21] op_sel_hi:[1,0]
	v_pk_add_f32 v[10:11], v[38:39], v[10:11]
	v_mov_b32_e32 v20, v16
	v_mov_b32_e32 v21, v19
	s_mov_b32 s22, s13
	v_pk_add_f32 v[10:11], v[20:21], v[10:11]
	v_pk_fma_f32 v[20:21], v[40:41], s[18:19], v[22:23] op_sel:[0,0,1] op_sel_hi:[1,0,0]
	v_pk_fma_f32 v[22:23], v[40:41], s[18:19], v[22:23] op_sel:[0,0,1] op_sel_hi:[1,0,0] neg_lo:[0,0,1] neg_hi:[0,0,1]
	v_pk_mul_f32 v[24:25], v[54:55], s[22:23] op_sel_hi:[1,0]
	v_mov_b32_e32 v26, v20
	v_mov_b32_e32 v27, v23
	s_mov_b32 s24, 0x3e750f2a
	v_pk_add_f32 v[10:11], v[26:27], v[10:11]
	v_pk_fma_f32 v[26:27], v[50:51], s[12:13], v[24:25] op_sel:[0,0,1] op_sel_hi:[1,0,0]
	v_pk_fma_f32 v[24:25], v[50:51], s[12:13], v[24:25] op_sel:[0,0,1] op_sel_hi:[1,0,0] neg_lo:[0,0,1] neg_hi:[0,0,1]
	v_pk_mul_f32 v[12:13], v[58:59], s[24:25] op_sel_hi:[1,0]
	;; [unrolled: 7-line block ×3, first 2 shown]
	v_mov_b32_e32 v60, v28
	v_mov_b32_e32 v61, v13
	v_pk_add_f32 v[10:11], v[60:61], v[10:11]
	v_pk_fma_f32 v[60:61], v[76:77], s[2:3], v[14:15] op_sel:[0,0,1] op_sel_hi:[1,0,0]
	v_pk_fma_f32 v[14:15], v[76:77], s[2:3], v[14:15] op_sel:[0,0,1] op_sel_hi:[1,0,0] neg_lo:[0,0,1] neg_hi:[0,0,1]
	v_mov_b32_e32 v62, v60
	v_mov_b32_e32 v63, v15
	s_mov_b32 s26, s23
	v_pk_add_f32 v[10:11], v[62:63], v[10:11]
	v_pk_mul_f32 v[62:63], v[46:47], s[26:27] op_sel_hi:[1,0]
	s_mov_b32 s28, s17
	v_pk_mul_f32 v[64:65], v[48:49], s[28:29] op_sel_hi:[1,0]
	v_pk_fma_f32 v[74:75], v[44:45], s[10:11], v[62:63] op_sel:[0,0,1] op_sel_hi:[1,0,0]
	v_pk_fma_f32 v[62:63], v[44:45], s[10:11], v[62:63] op_sel:[0,0,1] op_sel_hi:[1,0,0] neg_lo:[0,0,1] neg_hi:[0,0,1]
	s_mov_b32 s30, s3
	v_mov_b32_e32 v78, v74
	v_mov_b32_e32 v79, v63
	v_pk_fma_f32 v[80:81], v[42:43], s[12:13], v[64:65] op_sel:[0,0,1] op_sel_hi:[1,0,0]
	v_pk_fma_f32 v[64:65], v[42:43], s[12:13], v[64:65] op_sel:[0,0,1] op_sel_hi:[1,0,0] neg_lo:[0,0,1] neg_hi:[0,0,1]
	v_pk_mul_f32 v[66:67], v[52:53], s[30:31] op_sel_hi:[1,0]
	v_pk_add_f32 v[78:79], v[38:39], v[78:79]
	v_mov_b32_e32 v84, v80
	v_mov_b32_e32 v85, v65
	v_pk_add_f32 v[78:79], v[84:85], v[78:79]
	v_pk_fma_f32 v[84:85], v[40:41], s[2:3], v[66:67] op_sel:[0,0,1] op_sel_hi:[1,0,0]
	v_pk_fma_f32 v[66:67], v[40:41], s[2:3], v[66:67] op_sel:[0,0,1] op_sel_hi:[1,0,0] neg_lo:[0,0,1] neg_hi:[0,0,1]
	v_pk_mul_f32 v[68:69], v[54:55], s[24:25] op_sel_hi:[1,0]
	v_mov_b32_e32 v86, v84
	v_mov_b32_e32 v87, v67
	v_pk_add_f32 v[78:79], v[86:87], v[78:79]
	v_pk_fma_f32 v[86:87], v[50:51], s[8:9], v[68:69] op_sel:[0,0,1] op_sel_hi:[1,0,0]
	v_pk_fma_f32 v[68:69], v[50:51], s[8:9], v[68:69] op_sel:[0,0,1] op_sel_hi:[1,0,0] neg_lo:[0,0,1] neg_hi:[0,0,1]
	v_pk_mul_f32 v[70:71], v[58:59], s[20:21] op_sel_hi:[1,0]
	v_mov_b32_e32 v88, v86
	v_mov_b32_e32 v89, v69
	v_pk_add_f32 v[78:79], v[88:89], v[78:79]
	v_pk_fma_f32 v[88:89], v[56:57], s[18:19], v[70:71] op_sel:[0,0,1] op_sel_hi:[1,0,0]
	v_pk_fma_f32 v[70:71], v[56:57], s[18:19], v[70:71] op_sel:[0,0,1] op_sel_hi:[1,0,0] neg_lo:[0,0,1] neg_hi:[0,0,1]
	v_pk_mul_f32 v[72:73], v[82:83], s[16:17] op_sel_hi:[1,0]
	v_mov_b32_e32 v90, v88
	v_mov_b32_e32 v91, v71
	v_pk_add_f32 v[78:79], v[90:91], v[78:79]
	v_pk_fma_f32 v[90:91], v[76:77], s[6:7], v[72:73] op_sel:[0,0,1] op_sel_hi:[1,0,0]
	v_pk_fma_f32 v[72:73], v[76:77], s[6:7], v[72:73] op_sel:[0,0,1] op_sel_hi:[1,0,0] neg_lo:[0,0,1] neg_hi:[0,0,1]
	v_mov_b32_e32 v92, v90
	v_mov_b32_e32 v93, v73
	v_pk_add_f32 v[78:79], v[92:93], v[78:79]
	s_mov_b32 s24, s9
	ds_write2_b64 v154, v[10:11], v[78:79] offset0:4 offset1:5
	v_pk_mul_f32 v[10:11], v[46:47], s[24:25] op_sel_hi:[1,0]
	v_pk_mul_f32 v[46:47], v[48:49], s[20:21] op_sel_hi:[1,0]
	v_pk_fma_f32 v[78:79], v[44:45], s[8:9], v[10:11] op_sel:[0,0,1] op_sel_hi:[1,0,0]
	v_pk_fma_f32 v[10:11], v[44:45], s[8:9], v[10:11] op_sel:[0,0,1] op_sel_hi:[1,0,0] neg_lo:[0,0,1] neg_hi:[0,0,1]
	v_pk_mul_f32 v[48:49], v[52:53], s[26:27] op_sel_hi:[1,0]
	v_pk_mul_f32 v[52:53], v[54:55], s[22:23] op_sel_hi:[1,0]
	;; [unrolled: 1-line block ×4, first 2 shown]
	v_mov_b32_e32 v44, v78
	v_mov_b32_e32 v45, v11
	v_pk_fma_f32 v[82:83], v[42:43], s[18:19], v[46:47] op_sel:[0,0,1] op_sel_hi:[1,0,0]
	v_pk_fma_f32 v[42:43], v[42:43], s[18:19], v[46:47] op_sel:[0,0,1] op_sel_hi:[1,0,0] neg_lo:[0,0,1] neg_hi:[0,0,1]
	v_pk_add_f32 v[44:45], v[38:39], v[44:45]
	v_mov_b32_e32 v46, v82
	v_mov_b32_e32 v47, v43
	v_pk_add_f32 v[44:45], v[46:47], v[44:45]
	v_pk_fma_f32 v[46:47], v[40:41], s[10:11], v[48:49] op_sel:[0,0,1] op_sel_hi:[1,0,0]
	v_pk_fma_f32 v[40:41], v[40:41], s[10:11], v[48:49] op_sel:[0,0,1] op_sel_hi:[1,0,0] neg_lo:[0,0,1] neg_hi:[0,0,1]
	v_mov_b32_e32 v48, v46
	v_mov_b32_e32 v49, v41
	v_pk_add_f32 v[44:45], v[48:49], v[44:45]
	v_pk_fma_f32 v[48:49], v[50:51], s[2:3], v[52:53] op_sel:[0,0,1] op_sel_hi:[1,0,0]
	v_pk_fma_f32 v[50:51], v[50:51], s[2:3], v[52:53] op_sel:[0,0,1] op_sel_hi:[1,0,0] neg_lo:[0,0,1] neg_hi:[0,0,1]
	v_mov_b32_e32 v11, v79
	v_mov_b32_e32 v52, v48
	v_mov_b32_e32 v53, v51
	v_pk_add_f32 v[10:11], v[38:39], v[10:11]
	v_mov_b32_e32 v43, v83
	v_pk_add_f32 v[44:45], v[52:53], v[44:45]
	v_pk_fma_f32 v[52:53], v[56:57], s[6:7], v[54:55] op_sel:[0,0,1] op_sel_hi:[1,0,0]
	v_pk_fma_f32 v[54:55], v[56:57], s[6:7], v[54:55] op_sel:[0,0,1] op_sel_hi:[1,0,0] neg_lo:[0,0,1] neg_hi:[0,0,1]
	v_pk_add_f32 v[10:11], v[42:43], v[10:11]
	v_mov_b32_e32 v41, v47
	v_mov_b32_e32 v56, v52
	;; [unrolled: 1-line block ×3, first 2 shown]
	v_pk_add_f32 v[10:11], v[40:41], v[10:11]
	v_mov_b32_e32 v51, v49
	v_pk_add_f32 v[44:45], v[56:57], v[44:45]
	v_pk_fma_f32 v[56:57], v[76:77], s[12:13], v[58:59] op_sel:[0,0,1] op_sel_hi:[1,0,0]
	v_pk_fma_f32 v[58:59], v[76:77], s[12:13], v[58:59] op_sel:[0,0,1] op_sel_hi:[1,0,0] neg_lo:[0,0,1] neg_hi:[0,0,1]
	v_pk_add_f32 v[10:11], v[50:51], v[10:11]
	v_mov_b32_e32 v55, v53
	v_mov_b32_e32 v76, v56
	v_mov_b32_e32 v77, v59
	v_pk_add_f32 v[10:11], v[54:55], v[10:11]
	v_mov_b32_e32 v59, v57
	v_pk_add_f32 v[44:45], v[76:77], v[44:45]
	v_pk_add_f32 v[10:11], v[58:59], v[10:11]
	v_mov_b32_e32 v63, v75
	v_mov_b32_e32 v9, v7
	ds_write2_b64 v154, v[44:45], v[10:11] offset0:6 offset1:7
	v_pk_add_f32 v[10:11], v[38:39], v[62:63]
	v_mov_b32_e32 v65, v81
	v_pk_add_f32 v[6:7], v[38:39], v[8:9]
	v_mov_b32_e32 v19, v17
	;; [unrolled: 2-line block ×10, first 2 shown]
	v_pk_add_f32 v[10:11], v[72:73], v[10:11]
	v_pk_add_f32 v[6:7], v[14:15], v[6:7]
	ds_write2_b64 v154, v[10:11], v[6:7] offset0:8 offset1:9
	ds_write2_b64 v154, v[0:1], v[2:3] offset0:10 offset1:11
	ds_write_b64 v154, v[4:5] offset:96
.LBB0_19:
	s_or_b64 exec, exec, s[14:15]
	s_movk_i32 s2, 0x4f
	v_add_u32_e32 v28, 0x5b, v32
	v_mul_lo_u16_sdwa v40, v32, s2 dst_sel:DWORD dst_unused:UNUSED_PAD src0_sel:BYTE_0 src1_sel:DWORD
	v_lshrrev_b16_e32 v7, 10, v40
	v_mul_lo_u16_sdwa v38, v28, s2 dst_sel:DWORD dst_unused:UNUSED_PAD src0_sel:BYTE_0 src1_sel:DWORD
	v_mul_lo_u16_e32 v8, 13, v7
	v_lshrrev_b16_e32 v41, 10, v38
	v_sub_u16_e32 v10, v32, v8
	v_mul_lo_u16_e32 v8, 13, v41
	s_movk_i32 s2, 0x4ec5
	v_sub_u16_e32 v11, v28, v8
	v_mul_u32_u24_sdwa v8, v34, s2 dst_sel:DWORD dst_unused:UNUSED_PAD src0_sel:WORD_0 src1_sel:DWORD
	v_lshrrev_b32_e32 v52, 18, v8
	v_add_u32_e32 v6, 0x16c, v32
	v_mul_lo_u16_e32 v8, 13, v52
	v_sub_u16_e32 v12, v34, v8
	v_mul_u32_u24_sdwa v8, v36, s2 dst_sel:DWORD dst_unused:UNUSED_PAD src0_sel:WORD_0 src1_sel:DWORD
	v_mul_u32_u24_sdwa v9, v6, s2 dst_sel:DWORD dst_unused:UNUSED_PAD src0_sel:WORD_0 src1_sel:DWORD
	v_lshrrev_b32_e32 v53, 18, v8
	v_lshrrev_b32_e32 v54, 18, v9
	v_mul_lo_u16_e32 v8, 13, v53
	v_mul_lo_u16_e32 v9, 13, v54
	v_sub_u16_e32 v8, v36, v8
	v_sub_u16_e32 v6, v6, v9
	v_lshlrev_b32_e32 v55, 3, v8
	v_mov_b32_e32 v39, 3
	v_lshlrev_b32_e32 v59, 3, v6
	s_waitcnt lgkmcnt(0)
	s_barrier
	global_load_dwordx2 v[8:9], v55, s[4:5]
	v_lshlrev_b32_sdwa v56, v39, v10 dst_sel:DWORD dst_unused:UNUSED_PAD src0_sel:DWORD src1_sel:BYTE_0
	v_lshlrev_b32_sdwa v57, v39, v11 dst_sel:DWORD dst_unused:UNUSED_PAD src0_sel:DWORD src1_sel:BYTE_0
	v_lshlrev_b32_e32 v58, 3, v12
	global_load_dwordx2 v[22:23], v59, s[4:5]
	global_load_dwordx2 v[24:25], v58, s[4:5]
	;; [unrolled: 1-line block ×4, first 2 shown]
	ds_read2_b64 v[10:13], v153 offset0:108 offset1:199
	ds_read2_b64 v[14:17], v151 offset0:34 offset1:125
	s_movk_i32 s2, 0xd0
	s_mov_b32 s3, 0x5040100
	v_lshlrev_b32_e32 v19, 3, v36
	v_mad_u32_u24 v36, v41, s2, 0
	v_perm_b32 v41, v53, v52, s3
	v_lshlrev_b32_e32 v18, 3, v34
	v_add_u32_e32 v6, 0x1400, v33
	v_pk_mul_lo_u16 v41, v41, s2 op_sel_hi:[1,0]
	v_add3_u32 v29, 0, v18, v150
	v_add3_u32 v34, 0, v19, v150
	ds_read2_b64 v[18:21], v6 offset0:88 offset1:179
	ds_read_b64 v[44:45], v34
	ds_read_b64 v[46:47], v29
	ds_read_b64 v[48:49], v33 offset:728
	ds_read_b64 v[50:51], v149
	v_and_b32_e32 v53, 0xfff0, v41
	v_mad_u32_u24 v7, v7, s2, 0
	v_mad_u32_u24 v52, v54, s2, 0
	v_add_u32_sdwa v35, v35, v41 dst_sel:DWORD dst_unused:UNUSED_PAD src0_sel:DWORD src1_sel:WORD_1
	v_add_u32_e32 v41, 0, v53
	v_add3_u32 v7, v7, v56, v150
	v_add3_u32 v36, v36, v57, v150
	v_add3_u32 v35, v35, v55, v150
	v_add3_u32 v64, v52, v59, v150
	v_add3_u32 v41, v41, v58, v150
	s_waitcnt lgkmcnt(0)
	s_barrier
	v_cmp_gt_u32_e32 vcc, 39, v32
	s_waitcnt vmcnt(4)
	v_pk_mul_f32 v[52:53], v[8:9], v[18:19] op_sel:[0,1]
	s_waitcnt vmcnt(3)
	v_pk_mul_f32 v[54:55], v[22:23], v[20:21] op_sel:[0,1]
	;; [unrolled: 2-line block ×5, first 2 shown]
	v_pk_fma_f32 v[62:63], v[8:9], v[18:19], v[52:53] op_sel:[0,0,1] op_sel_hi:[1,1,0]
	v_pk_fma_f32 v[8:9], v[8:9], v[18:19], v[52:53] op_sel:[0,0,1] op_sel_hi:[1,0,0] neg_lo:[1,0,0] neg_hi:[1,0,0]
	v_pk_fma_f32 v[18:19], v[22:23], v[20:21], v[54:55] op_sel:[0,0,1] op_sel_hi:[1,1,0]
	v_pk_fma_f32 v[20:21], v[22:23], v[20:21], v[54:55] op_sel:[0,0,1] op_sel_hi:[1,0,0] neg_lo:[1,0,0] neg_hi:[1,0,0]
	;; [unrolled: 2-line block ×5, first 2 shown]
	v_mov_b32_e32 v63, v9
	v_mov_b32_e32 v23, v17
	;; [unrolled: 1-line block ×5, first 2 shown]
	v_pk_add_f32 v[8:9], v[44:45], v[62:63] neg_lo:[0,1] neg_hi:[0,1]
	v_pk_add_f32 v[14:15], v[46:47], v[22:23] neg_lo:[0,1] neg_hi:[0,1]
	;; [unrolled: 1-line block ×5, first 2 shown]
	v_pk_fma_f32 v[18:19], v[44:45], 2.0, v[8:9] op_sel_hi:[1,0,1] neg_lo:[0,0,1] neg_hi:[0,0,1]
	v_pk_fma_f32 v[20:21], v[46:47], 2.0, v[14:15] op_sel_hi:[1,0,1] neg_lo:[0,0,1] neg_hi:[0,0,1]
	;; [unrolled: 1-line block ×5, first 2 shown]
	ds_write2_b64 v7, v[26:27], v[12:13] offset1:13
	ds_write2_b64 v36, v[22:23], v[16:17] offset1:13
	;; [unrolled: 1-line block ×5, first 2 shown]
	s_waitcnt lgkmcnt(0)
	s_barrier
	ds_read_b64 v[26:27], v149
	ds_read2_b64 v[12:15], v37 offset0:2 offset1:132
	ds_read2_b64 v[20:23], v152 offset0:6 offset1:136
	;; [unrolled: 1-line block ×3, first 2 shown]
	s_and_saveexec_b64 s[2:3], vcc
	s_cbranch_execz .LBB0_21
; %bb.20:
	v_add_u32_e32 v0, 0x800, v33
	ds_read2_b32 v[24:25], v0 offset0:190 offset1:191
	v_add_u32_e32 v0, 0xc00, v33
	ds_read2_b64 v[8:11], v33 offset0:91 offset1:221
	ds_read2_b64 v[0:3], v0 offset0:97 offset1:227
	;; [unrolled: 1-line block ×3, first 2 shown]
.LBB0_21:
	s_or_b64 exec, exec, s[2:3]
	v_lshrrev_b16_e32 v55, 11, v40
	v_mul_lo_u16_e32 v35, 26, v55
	v_sub_u16_e32 v57, v32, v35
	v_mov_b32_e32 v35, 6
	v_mul_u32_u24_sdwa v36, v57, v35 dst_sel:DWORD dst_unused:UNUSED_PAD src0_sel:BYTE_0 src1_sel:DWORD
	v_lshlrev_b32_e32 v36, 3, v36
	global_load_dwordx4 v[40:43], v36, s[4:5] offset:120
	global_load_dwordx4 v[44:47], v36, s[4:5] offset:104
	;; [unrolled: 1-line block ×3, first 2 shown]
	s_waitcnt lgkmcnt(1)
	v_mov_b32_e32 v36, v21
	v_mov_b32_e32 v37, v20
	;; [unrolled: 1-line block ×4, first 2 shown]
	s_movk_i32 s3, 0x5b0
	v_mov_b32_e32 v54, v13
	v_mov_b32_e32 v56, v15
	s_waitcnt lgkmcnt(0)
	v_mov_b32_e32 v58, v17
	v_mov_b32_e32 v60, v19
	v_mad_u32_u24 v21, v55, s3, 0
	v_lshlrev_b32_sdwa v23, v39, v57 dst_sel:DWORD dst_unused:UNUSED_PAD src0_sel:DWORD src1_sel:BYTE_0
	v_add3_u32 v39, v21, v23, v150
	s_mov_b32 s6, 0x3f08b237
	s_mov_b32 s14, 0x3d64c772
	s_mov_b32 s7, 0xbeae86e6
	s_mov_b32 s15, 0x3f4a47b2
	s_mov_b32 s8, s7
	s_mov_b32 s9, s6
	s_mov_b32 s18, s15
	s_mov_b32 s19, s14
	s_mov_b32 s16, 0xbf955555
	s_mov_b32 s10, 0xbf5ff5aa
	s_mov_b32 s12, 0x3f3bfb3b
	s_mov_b32 s2, 0xbee1c552
	s_barrier
	s_waitcnt vmcnt(2)
	v_pk_mul_f32 v[64:65], v[40:41], v[36:37]
	v_mov_b32_e32 v62, v41
	v_mov_b32_e32 v64, v43
	v_pk_mul_f32 v[66:67], v[42:43], v[52:53]
	s_waitcnt vmcnt(1)
	v_pk_mul_f32 v[68:69], v[44:45], v[12:13] op_sel_hi:[1,0]
	v_pk_mul_f32 v[70:71], v[46:47], v[14:15] op_sel_hi:[1,0]
	s_waitcnt vmcnt(0)
	v_pk_mul_f32 v[72:73], v[48:49], v[16:17] op_sel_hi:[1,0]
	v_pk_mul_f32 v[74:75], v[50:51], v[18:19] op_sel_hi:[1,0]
	;; [unrolled: 1-line block ×4, first 2 shown]
	v_pk_mul_f32 v[62:63], v[62:63], v[36:37]
	v_mov_b32_e32 v66, v65
	v_pk_mul_f32 v[64:65], v[64:65], v[52:53]
	v_pk_fma_f32 v[54:55], v[44:45], v[54:55], v[68:69] op_sel:[0,0,1] op_sel_hi:[1,1,0] neg_lo:[0,0,1] neg_hi:[0,0,1]
	v_pk_fma_f32 v[12:13], v[44:45], v[12:13], v[68:69] op_sel:[0,1,1] op_sel_hi:[1,1,0]
	v_pk_fma_f32 v[44:45], v[46:47], v[56:57], v[70:71] op_sel:[0,0,1] op_sel_hi:[1,1,0] neg_lo:[0,0,1] neg_hi:[0,0,1]
	v_pk_fma_f32 v[14:15], v[46:47], v[14:15], v[70:71] op_sel:[0,1,1] op_sel_hi:[1,1,0]
	;; [unrolled: 2-line block ×3, first 2 shown]
	v_pk_fma_f32 v[48:49], v[50:51], v[60:61], v[74:75] op_sel:[0,0,1] op_sel_hi:[1,1,0] neg_lo:[0,0,1] neg_hi:[0,0,1]
	v_mov_b32_e32 v76, v67
	v_pk_fma_f32 v[18:19], v[50:51], v[18:19], v[74:75] op_sel:[0,1,1] op_sel_hi:[1,1,0]
	v_mov_b32_e32 v23, v54
	v_mov_b32_e32 v65, v48
	;; [unrolled: 1-line block ×4, first 2 shown]
	v_pk_fma_f32 v[36:37], v[40:41], v[36:37], v[66:67] neg_lo:[0,0,1] neg_hi:[0,0,1]
	v_pk_fma_f32 v[40:41], v[42:43], v[52:53], v[76:77] neg_lo:[0,0,1] neg_hi:[0,0,1]
	v_mov_b32_e32 v55, v13
	v_mov_b32_e32 v45, v15
	v_mov_b32_e32 v47, v17
	v_mov_b32_e32 v49, v19
	v_pk_add_f32 v[22:23], v[22:23], v[64:65]
	v_pk_add_f32 v[20:21], v[20:21], v[62:63]
	;; [unrolled: 1-line block ×4, first 2 shown]
	v_mov_b32_e32 v41, v22
	v_mov_b32_e32 v37, v20
	v_pk_add_f32 v[14:15], v[54:55], v[48:49] neg_lo:[0,1] neg_hi:[0,1]
	v_pk_add_f32 v[18:19], v[44:45], v[46:47] neg_lo:[0,1] neg_hi:[0,1]
	v_mov_b32_e32 v43, v36
	v_mov_b32_e32 v45, v40
	;; [unrolled: 1-line block ×4, first 2 shown]
	v_pk_add_f32 v[36:37], v[40:41], v[36:37] neg_lo:[0,1] neg_hi:[0,1]
	v_mov_b32_e32 v50, v14
	v_mov_b32_e32 v53, v19
	v_pk_add_f32 v[54:55], v[20:21], v[22:23]
	v_pk_add_f32 v[40:41], v[42:43], v[44:45]
	v_mov_b32_e32 v51, v37
	v_mov_b32_e32 v52, v36
	;; [unrolled: 1-line block ×9, first 2 shown]
	v_pk_add_f32 v[44:45], v[50:51], v[52:53] neg_lo:[0,1] neg_hi:[0,1]
	v_mov_b32_e32 v50, v13
	v_mov_b32_e32 v51, v41
	v_mov_b32_e32 v20, v54
	v_pk_add_f32 v[42:43], v[46:47], v[48:49] neg_lo:[0,1] neg_hi:[0,1]
	v_pk_add_f32 v[46:47], v[22:23], v[56:57] neg_lo:[0,1] neg_hi:[0,1]
	;; [unrolled: 1-line block ×3, first 2 shown]
	v_pk_add_f32 v[36:37], v[36:37], v[18:19]
	v_pk_mul_f32 v[42:43], v[42:43], s[6:7]
	v_pk_mul_f32 v[48:49], v[44:45], s[8:9]
	v_pk_add_f32 v[40:41], v[40:41], v[54:55]
	v_pk_mul_f32 v[46:47], v[46:47], s[14:15]
	v_pk_mul_f32 v[52:53], v[50:51], s[18:19]
	v_mov_b32_e32 v20, v17
	v_mov_b32_e32 v22, v13
	v_pk_add_f32 v[36:37], v[36:37], v[14:15]
	v_pk_add_f32 v[26:27], v[40:41], v[26:27]
	v_pk_fma_f32 v[50:51], v[50:51], s[18:19], v[46:47]
	v_pk_fma_f32 v[44:45], v[44:45], s[8:9], v[42:43]
	v_pk_add_f32 v[14:15], v[18:19], v[14:15] neg_lo:[0,1] neg_hi:[0,1]
	v_pk_add_f32 v[12:13], v[20:21], v[22:23] neg_lo:[0,1] neg_hi:[0,1]
	v_mov_b32_e32 v16, v52
	v_mov_b32_e32 v17, v47
	;; [unrolled: 1-line block ×6, first 2 shown]
	v_pk_fma_f32 v[40:41], v[40:41], s[16:17], v[26:27] op_sel_hi:[1,0,1]
	v_pk_fma_f32 v[16:17], v[12:13], s[12:13], v[16:17] op_sel_hi:[1,0,1] neg_lo:[1,0,1] neg_hi:[1,0,1]
	v_pk_fma_f32 v[18:19], v[14:15], s[10:11], v[18:19] op_sel_hi:[1,0,1] neg_lo:[1,0,1] neg_hi:[1,0,1]
	;; [unrolled: 1-line block ×4, first 2 shown]
	v_pk_add_f32 v[50:51], v[50:51], v[40:41]
	v_pk_fma_f32 v[44:45], v[36:37], s[2:3], v[44:45] op_sel_hi:[1,0,1]
	v_pk_add_f32 v[16:17], v[16:17], v[40:41]
	v_pk_fma_f32 v[18:19], v[36:37], s[2:3], v[18:19] op_sel_hi:[1,0,1]
	;; [unrolled: 2-line block ×3, first 2 shown]
	v_pk_add_f32 v[54:55], v[50:51], v[44:45]
	v_pk_add_f32 v[44:45], v[50:51], v[44:45] neg_lo:[0,1] neg_hi:[0,1]
	v_pk_add_f32 v[20:21], v[16:17], v[18:19]
	v_pk_add_f32 v[16:17], v[16:17], v[18:19] neg_lo:[0,1] neg_hi:[0,1]
	v_pk_add_f32 v[22:23], v[12:13], v[14:15] neg_lo:[0,1] neg_hi:[0,1]
	v_pk_add_f32 v[12:13], v[12:13], v[14:15]
	v_mov_b32_e32 v50, v54
	v_mov_b32_e32 v51, v45
	v_mov_b32_e32 v18, v20
	v_mov_b32_e32 v19, v17
	v_mov_b32_e32 v14, v22
	v_mov_b32_e32 v15, v13
	v_mov_b32_e32 v13, v23
	v_mov_b32_e32 v17, v21
	v_mov_b32_e32 v45, v55
	ds_write2_b64 v39, v[26:27], v[50:51] offset1:26
	ds_write2_b64 v39, v[18:19], v[14:15] offset0:52 offset1:78
	ds_write2_b64 v39, v[12:13], v[16:17] offset0:104 offset1:130
	ds_write_b64 v39, v[44:45] offset:1248
	s_and_saveexec_b64 s[20:21], vcc
	s_cbranch_execz .LBB0_23
; %bb.22:
	v_lshrrev_b16_e32 v27, 11, v38
	v_mul_lo_u16_e32 v12, 26, v27
	v_sub_u16_e32 v37, v28, v12
	v_mul_u32_u24_sdwa v12, v37, v35 dst_sel:DWORD dst_unused:UNUSED_PAD src0_sel:BYTE_0 src1_sel:DWORD
	v_lshlrev_b32_e32 v26, 3, v12
	global_load_dwordx4 v[12:15], v26, s[4:5] offset:120
	global_load_dwordx4 v[16:19], v26, s[4:5] offset:104
	;; [unrolled: 1-line block ×3, first 2 shown]
	v_mov_b32_e32 v26, v11
	v_mov_b32_e32 v36, v11
	;; [unrolled: 1-line block ×8, first 2 shown]
	v_mad_u32_u24 v27, v27, s3, 0
	v_mov_b32_e32 v35, 3
	v_lshlrev_b32_sdwa v35, v35, v37 dst_sel:DWORD dst_unused:UNUSED_PAD src0_sel:DWORD src1_sel:BYTE_0
	v_add3_u32 v35, v27, v35, v150
	s_waitcnt vmcnt(2)
	v_mov_b32_e32 v50, v15
	v_mov_b32_e32 v51, v14
	s_waitcnt vmcnt(1)
	v_pk_mul_f32 v[10:11], v[10:11], v[16:17] op_sel_hi:[0,1]
	s_waitcnt vmcnt(0)
	v_pk_mul_f32 v[6:7], v[6:7], v[22:23] op_sel_hi:[0,1]
	v_pk_mul_f32 v[24:25], v[24:25], v[18:19] op_sel_hi:[0,1]
	;; [unrolled: 1-line block ×3, first 2 shown]
	v_pk_mul_f32 v[14:15], v[2:3], v[14:15]
	v_pk_mul_f32 v[52:53], v[0:1], v[12:13]
	v_pk_mul_f32 v[44:45], v[44:45], v[12:13] op_sel:[0,1] op_sel_hi:[1,0]
	v_pk_mul_f32 v[56:57], v[0:1], v[12:13] op_sel:[0,1] op_sel_hi:[1,0]
	v_pk_mul_f32 v[42:43], v[42:43], v[50:51]
	v_pk_mul_f32 v[58:59], v[2:3], v[50:51]
	v_pk_fma_f32 v[38:39], v[38:39], v[22:23], v[6:7] op_sel:[0,0,1] op_sel_hi:[1,1,0] neg_lo:[0,0,1] neg_hi:[0,0,1]
	v_pk_fma_f32 v[6:7], v[40:41], v[22:23], v[6:7] op_sel:[0,0,1] op_sel_hi:[0,1,0]
	v_pk_fma_f32 v[22:23], v[26:27], v[16:17], v[10:11] op_sel:[0,0,1] op_sel_hi:[1,1,0] neg_lo:[0,0,1] neg_hi:[0,0,1]
	v_pk_fma_f32 v[10:11], v[36:37], v[16:17], v[10:11] op_sel:[0,0,1] op_sel_hi:[0,1,0]
	;; [unrolled: 2-line block ×4, first 2 shown]
	v_mov_b32_e32 v56, v57
	v_mov_b32_e32 v4, v59
	;; [unrolled: 1-line block ×10, first 2 shown]
	v_pk_fma_f32 v[0:1], v[0:1], v[12:13], v[56:57] op_sel:[0,1,0] op_sel_hi:[1,0,1] neg_lo:[1,0,0] neg_hi:[1,0,0]
	v_pk_fma_f32 v[2:3], v[2:3], v[50:51], v[4:5] neg_lo:[1,0,0] neg_hi:[1,0,0]
	v_pk_add_f32 v[4:5], v[22:23], v[38:39]
	v_pk_add_f32 v[6:7], v[20:21], v[16:17]
	v_pk_add_f32 v[12:13], v[20:21], v[16:17] neg_lo:[0,1] neg_hi:[0,1]
	v_pk_add_f32 v[14:15], v[14:15], v[42:43]
	v_pk_add_f32 v[16:17], v[52:53], v[44:45]
	v_mov_b32_e32 v19, v0
	v_mov_b32_e32 v3, v14
	;; [unrolled: 1-line block ×6, first 2 shown]
	v_pk_add_f32 v[10:11], v[22:23], v[38:39] neg_lo:[0,1] neg_hi:[0,1]
	v_pk_add_f32 v[36:37], v[16:17], v[14:15]
	v_pk_add_f32 v[0:1], v[2:3], v[0:1] neg_lo:[0,1] neg_hi:[0,1]
	v_pk_add_f32 v[2:3], v[18:19], v[26:27]
	v_mov_b32_e32 v20, v10
	v_mov_b32_e32 v23, v13
	;; [unrolled: 1-line block ×4, first 2 shown]
	v_pk_add_f32 v[26:27], v[2:3], v[36:37]
	v_mov_b32_e32 v2, v5
	v_mov_b32_e32 v37, v17
	v_mov_b32_e32 v25, v11
	v_pk_add_f32 v[18:19], v[0:1], v[12:13]
	v_mov_b32_e32 v24, v0
	v_mov_b32_e32 v0, v12
	v_pk_add_f32 v[20:21], v[20:21], v[22:23] neg_lo:[0,1] neg_hi:[0,1]
	v_pk_add_f32 v[22:23], v[2:3], v[36:37] neg_lo:[0,1] neg_hi:[0,1]
	v_mov_b32_e32 v37, v15
	v_mov_b32_e32 v2, v7
	v_pk_add_f32 v[0:1], v[24:25], v[0:1] neg_lo:[0,1] neg_hi:[0,1]
	v_pk_add_f32 v[2:3], v[36:37], v[2:3] neg_lo:[0,1] neg_hi:[0,1]
	v_pk_add_f32 v[8:9], v[8:9], v[26:27]
	v_pk_mul_f32 v[0:1], v[0:1], s[6:7]
	v_pk_mul_f32 v[2:3], v[2:3], s[14:15]
	v_pk_add_f32 v[18:19], v[18:19], v[10:11]
	v_pk_mul_f32 v[24:25], v[20:21], s[8:9]
	v_pk_mul_f32 v[38:39], v[22:23], s[18:19]
	v_pk_fma_f32 v[26:27], v[26:27], s[16:17], v[8:9] op_sel_hi:[1,0,1]
	v_pk_fma_f32 v[20:21], v[20:21], s[8:9], v[0:1]
	v_pk_fma_f32 v[22:23], v[22:23], s[18:19], v[2:3]
	v_pk_fma_f32 v[20:21], v[18:19], s[2:3], v[20:21] op_sel_hi:[1,0,1]
	v_pk_add_f32 v[22:23], v[22:23], v[26:27]
	v_mov_b32_e32 v16, v7
	v_pk_add_f32 v[36:37], v[22:23], v[20:21]
	v_pk_add_f32 v[20:21], v[22:23], v[20:21] neg_lo:[0,1] neg_hi:[0,1]
	v_mov_b32_e32 v22, v36
	v_mov_b32_e32 v23, v21
	;; [unrolled: 1-line block ×3, first 2 shown]
	ds_write2_b64 v35, v[8:9], v[22:23] offset1:26
	v_pk_add_f32 v[8:9], v[12:13], v[10:11] neg_lo:[0,1] neg_hi:[0,1]
	v_mov_b32_e32 v10, v24
	v_mov_b32_e32 v11, v1
	v_pk_add_f32 v[4:5], v[16:17], v[14:15] neg_lo:[0,1] neg_hi:[0,1]
	v_mov_b32_e32 v6, v38
	v_mov_b32_e32 v7, v3
	;; [unrolled: 1-line block ×4, first 2 shown]
	v_pk_fma_f32 v[10:11], v[8:9], s[10:11], v[10:11] op_sel_hi:[1,0,1] neg_lo:[1,0,1] neg_hi:[1,0,1]
	v_pk_fma_f32 v[6:7], v[4:5], s[12:13], v[6:7] op_sel_hi:[1,0,1] neg_lo:[1,0,1] neg_hi:[1,0,1]
	;; [unrolled: 1-line block ×4, first 2 shown]
	v_pk_fma_f32 v[10:11], v[18:19], s[2:3], v[10:11] op_sel_hi:[1,0,1]
	v_pk_add_f32 v[6:7], v[6:7], v[26:27]
	v_pk_fma_f32 v[0:1], v[18:19], s[2:3], v[0:1] op_sel_hi:[1,0,1]
	v_pk_add_f32 v[2:3], v[2:3], v[26:27]
	v_pk_add_f32 v[12:13], v[6:7], v[10:11]
	v_pk_add_f32 v[6:7], v[6:7], v[10:11] neg_lo:[0,1] neg_hi:[0,1]
	v_pk_add_f32 v[4:5], v[2:3], v[0:1] neg_lo:[0,1] neg_hi:[0,1]
	v_pk_add_f32 v[0:1], v[2:3], v[0:1]
	v_mov_b32_e32 v10, v12
	v_mov_b32_e32 v11, v7
	;; [unrolled: 1-line block ×7, first 2 shown]
	ds_write2_b64 v35, v[10:11], v[2:3] offset0:52 offset1:78
	ds_write2_b64 v35, v[0:1], v[6:7] offset0:104 offset1:130
	ds_write_b64 v35, v[20:21] offset:1248
.LBB0_23:
	s_or_b64 exec, exec, s[20:21]
	v_lshlrev_b32_e32 v0, 2, v32
	v_mov_b32_e32 v1, 0
	v_lshl_add_u64 v[10:11], v[0:1], 3, s[4:5]
	v_lshlrev_b32_e32 v0, 2, v28
	s_waitcnt lgkmcnt(0)
	s_barrier
	global_load_dwordx4 v[2:5], v[10:11], off offset:1352
	global_load_dwordx4 v[6:9], v[10:11], off offset:1368
	v_lshl_add_u64 v[18:19], v[0:1], 3, s[4:5]
	global_load_dwordx4 v[10:13], v[18:19], off offset:1352
	global_load_dwordx4 v[14:17], v[18:19], off offset:1368
	v_add_u32_e32 v52, 0x800, v33
	v_add_u32_e32 v53, 0x1000, v33
	;; [unrolled: 1-line block ×3, first 2 shown]
	ds_read_b64 v[34:35], v34
	ds_read_b64 v[36:37], v149
	;; [unrolled: 1-line block ×3, first 2 shown]
	ds_read_b64 v[40:41], v33 offset:728
	ds_read2_b64 v[18:21], v52 offset0:108 offset1:199
	ds_read2_b64 v[22:25], v53 offset0:34 offset1:125
	;; [unrolled: 1-line block ×3, first 2 shown]
	s_mov_b32 s4, 0x3f737871
	s_mov_b32 s6, 0x3f167918
	;; [unrolled: 1-line block ×3, first 2 shown]
	s_waitcnt lgkmcnt(0)
	s_barrier
	s_waitcnt vmcnt(3)
	v_pk_mul_f32 v[42:43], v[2:3], v[38:39] op_sel:[0,1]
	v_pk_mul_f32 v[44:45], v[4:5], v[18:19] op_sel:[0,1]
	s_waitcnt vmcnt(2)
	v_pk_mul_f32 v[46:47], v[6:7], v[22:23] op_sel:[0,1]
	v_pk_mul_f32 v[48:49], v[8:9], v[26:27] op_sel:[0,1]
	v_pk_fma_f32 v[50:51], v[2:3], v[38:39], v[42:43] op_sel:[0,0,1] op_sel_hi:[1,1,0]
	v_pk_fma_f32 v[2:3], v[2:3], v[38:39], v[42:43] op_sel:[0,0,1] op_sel_hi:[1,0,0] neg_lo:[1,0,0] neg_hi:[1,0,0]
	v_pk_fma_f32 v[38:39], v[4:5], v[18:19], v[44:45] op_sel:[0,0,1] op_sel_hi:[1,1,0]
	v_pk_fma_f32 v[4:5], v[4:5], v[18:19], v[44:45] op_sel:[0,0,1] op_sel_hi:[1,0,0] neg_lo:[1,0,0] neg_hi:[1,0,0]
	;; [unrolled: 2-line block ×4, first 2 shown]
	s_waitcnt vmcnt(1)
	v_pk_mul_f32 v[26:27], v[10:11], v[34:35] op_sel:[0,1]
	v_mov_b32_e32 v0, v13
	s_waitcnt vmcnt(0)
	v_pk_mul_f32 v[42:43], v[24:25], v[14:15] op_sel:[0,1]
	v_mov_b32_e32 v2, v17
	v_mov_b32_e32 v51, v3
	;; [unrolled: 1-line block ×5, first 2 shown]
	v_pk_fma_f32 v[4:5], v[10:11], v[34:35], v[26:27] op_sel:[0,0,1] op_sel_hi:[1,1,0]
	v_pk_fma_f32 v[6:7], v[10:11], v[34:35], v[26:27] op_sel:[0,0,1] op_sel_hi:[1,0,0] neg_lo:[1,0,0] neg_hi:[1,0,0]
	v_pk_mul_f32 v[8:9], v[20:21], v[0:1] op_sel_hi:[1,0]
	v_pk_fma_f32 v[10:11], v[24:25], v[14:15], v[42:43] op_sel:[0,0,1] op_sel_hi:[1,1,0]
	v_pk_fma_f32 v[14:15], v[24:25], v[14:15], v[42:43] op_sel:[0,0,1] op_sel_hi:[1,0,0] neg_lo:[0,0,1] neg_hi:[0,0,1]
	v_pk_mul_f32 v[2:3], v[28:29], v[2:3] op_sel_hi:[1,0]
	v_pk_add_f32 v[24:25], v[36:37], v[50:51]
	v_mov_b32_e32 v5, v7
	v_pk_fma_f32 v[6:7], v[20:21], v[12:13], v[8:9] op_sel:[0,0,1] op_sel_hi:[1,1,0]
	v_pk_fma_f32 v[8:9], v[20:21], v[12:13], v[8:9] op_sel:[0,0,1] op_sel_hi:[1,0,0] neg_lo:[0,0,1] neg_hi:[0,0,1]
	v_mov_b32_e32 v11, v15
	v_pk_fma_f32 v[12:13], v[28:29], v[16:17], v[2:3] op_sel:[0,0,1] op_sel_hi:[1,1,0]
	v_pk_fma_f32 v[2:3], v[28:29], v[16:17], v[2:3] op_sel:[0,0,1] op_sel_hi:[1,0,0] neg_lo:[0,0,1] neg_hi:[0,0,1]
	v_pk_add_f32 v[14:15], v[38:39], v[18:19]
	v_pk_add_f32 v[16:17], v[50:51], v[22:23] neg_lo:[0,1] neg_hi:[0,1]
	v_pk_add_f32 v[20:21], v[38:39], v[18:19] neg_lo:[0,1] neg_hi:[0,1]
	;; [unrolled: 1-line block ×4, first 2 shown]
	v_pk_add_f32 v[34:35], v[50:51], v[22:23]
	v_pk_add_f32 v[24:25], v[24:25], v[38:39]
	v_mov_b32_e32 v7, v9
	v_pk_fma_f32 v[8:9], v[14:15], 0.5, v[36:37] op_sel_hi:[1,0,1] neg_lo:[1,0,0] neg_hi:[1,0,0]
	v_pk_mul_f32 v[14:15], v[16:17], s[4:5] op_sel_hi:[1,0]
	v_pk_add_f32 v[42:43], v[38:39], v[50:51] neg_lo:[0,1] neg_hi:[0,1]
	v_pk_add_f32 v[44:45], v[18:19], v[22:23] neg_lo:[0,1] neg_hi:[0,1]
	v_pk_mul_f32 v[38:39], v[20:21], s[6:7] op_sel_hi:[1,0]
	v_pk_add_f32 v[26:27], v[26:27], v[28:29]
	v_pk_fma_f32 v[28:29], v[34:35], 0.5, v[36:37] op_sel_hi:[1,0,1] neg_lo:[1,0,0] neg_hi:[1,0,0]
	v_pk_add_f32 v[18:19], v[24:25], v[18:19]
	v_pk_add_f32 v[24:25], v[8:9], v[14:15] op_sel:[0,1] op_sel_hi:[1,0] neg_lo:[0,1] neg_hi:[0,1]
	v_pk_mul_f32 v[20:21], v[20:21], s[4:5] op_sel_hi:[1,0]
	v_mov_b32_e32 v13, v3
	v_pk_add_f32 v[2:3], v[40:41], v[4:5]
	v_pk_add_f32 v[8:9], v[8:9], v[14:15] op_sel:[0,1] op_sel_hi:[1,0]
	v_pk_add_f32 v[14:15], v[18:19], v[22:23]
	v_pk_add_f32 v[18:19], v[24:25], v[38:39] op_sel:[0,1] op_sel_hi:[1,0] neg_lo:[0,1] neg_hi:[0,1]
	v_pk_mul_f32 v[16:17], v[16:17], s[6:7] op_sel_hi:[1,0]
	v_pk_add_f32 v[24:25], v[28:29], v[20:21] op_sel:[0,1] op_sel_hi:[1,0]
	v_pk_add_f32 v[20:21], v[28:29], v[20:21] op_sel:[0,1] op_sel_hi:[1,0] neg_lo:[0,1] neg_hi:[0,1]
	v_pk_add_f32 v[2:3], v[2:3], v[6:7]
	v_pk_add_f32 v[8:9], v[8:9], v[38:39] op_sel:[0,1] op_sel_hi:[1,0]
	v_pk_add_f32 v[20:21], v[20:21], v[16:17] op_sel:[0,1] op_sel_hi:[1,0]
	v_pk_add_f32 v[16:17], v[24:25], v[16:17] op_sel:[0,1] op_sel_hi:[1,0] neg_lo:[0,1] neg_hi:[0,1]
	v_pk_add_f32 v[34:35], v[42:43], v[44:45]
	v_pk_add_f32 v[2:3], v[2:3], v[10:11]
	v_mov_b32_e32 v22, v18
	v_mov_b32_e32 v23, v9
	;; [unrolled: 1-line block ×6, first 2 shown]
	v_pk_add_f32 v[2:3], v[2:3], v[12:13]
	v_pk_fma_f32 v[22:23], v[26:27], s[2:3], v[22:23] op_sel_hi:[1,0,1]
	v_pk_fma_f32 v[24:25], v[34:35], s[2:3], v[24:25] op_sel_hi:[1,0,1]
	v_add_u32_e32 v0, 0x400, v33
	v_pk_fma_f32 v[16:17], v[34:35], s[2:3], v[20:21] op_sel_hi:[1,0,1]
	v_pk_fma_f32 v[8:9], v[26:27], s[2:3], v[8:9] op_sel_hi:[1,0,1]
	ds_write2_b64 v0, v[22:23], v[24:25] offset0:54 offset1:236
	ds_write2_b64 v53, v[16:17], v[8:9] offset0:34 offset1:216
	ds_write2_b64 v33, v[14:15], v[2:3] offset1:91
	v_pk_add_f32 v[2:3], v[6:7], v[10:11]
	v_pk_add_f32 v[8:9], v[4:5], v[12:13] neg_lo:[0,1] neg_hi:[0,1]
	v_pk_fma_f32 v[2:3], v[2:3], 0.5, v[40:41] op_sel_hi:[1,0,1] neg_lo:[1,0,0] neg_hi:[1,0,0]
	v_pk_mul_f32 v[14:15], v[8:9], s[4:5] op_sel_hi:[1,0]
	v_pk_add_f32 v[16:17], v[6:7], v[10:11] neg_lo:[0,1] neg_hi:[0,1]
	v_pk_add_f32 v[20:21], v[4:5], v[6:7] neg_lo:[0,1] neg_hi:[0,1]
	;; [unrolled: 1-line block ×3, first 2 shown]
	v_pk_mul_f32 v[18:19], v[16:17], s[6:7] op_sel_hi:[1,0]
	v_pk_add_f32 v[20:21], v[20:21], v[22:23]
	v_pk_add_f32 v[22:23], v[2:3], v[14:15] op_sel:[0,1] op_sel_hi:[1,0] neg_lo:[0,1] neg_hi:[0,1]
	v_pk_add_f32 v[2:3], v[2:3], v[14:15] op_sel:[0,1] op_sel_hi:[1,0]
	v_pk_add_f32 v[14:15], v[22:23], v[18:19] op_sel:[0,1] op_sel_hi:[1,0] neg_lo:[0,1] neg_hi:[0,1]
	v_pk_add_f32 v[22:23], v[4:5], v[12:13]
	v_pk_add_f32 v[4:5], v[6:7], v[4:5] neg_lo:[0,1] neg_hi:[0,1]
	v_pk_add_f32 v[6:7], v[10:11], v[12:13] neg_lo:[0,1] neg_hi:[0,1]
	v_pk_fma_f32 v[22:23], v[22:23], 0.5, v[40:41] op_sel_hi:[1,0,1] neg_lo:[1,0,0] neg_hi:[1,0,0]
	v_pk_add_f32 v[4:5], v[4:5], v[6:7]
	v_pk_mul_f32 v[6:7], v[16:17], s[4:5] op_sel_hi:[1,0]
	v_pk_mul_f32 v[8:9], v[8:9], s[6:7] op_sel_hi:[1,0]
	v_pk_add_f32 v[10:11], v[22:23], v[6:7] op_sel:[0,1] op_sel_hi:[1,0]
	v_pk_add_f32 v[6:7], v[22:23], v[6:7] op_sel:[0,1] op_sel_hi:[1,0] neg_lo:[0,1] neg_hi:[0,1]
	v_pk_add_f32 v[2:3], v[2:3], v[18:19] op_sel:[0,1] op_sel_hi:[1,0]
	v_pk_add_f32 v[6:7], v[6:7], v[8:9] op_sel:[0,1] op_sel_hi:[1,0]
	v_pk_add_f32 v[8:9], v[10:11], v[8:9] op_sel:[0,1] op_sel_hi:[1,0] neg_lo:[0,1] neg_hi:[0,1]
	v_mov_b32_e32 v18, v14
	v_mov_b32_e32 v19, v3
	;; [unrolled: 1-line block ×6, first 2 shown]
	v_pk_fma_f32 v[18:19], v[20:21], s[2:3], v[18:19] op_sel_hi:[1,0,1]
	v_pk_fma_f32 v[10:11], v[4:5], s[2:3], v[10:11] op_sel_hi:[1,0,1]
	;; [unrolled: 1-line block ×4, first 2 shown]
	v_add_u32_e32 v0, 0x1200, v33
	ds_write2_b64 v52, v[18:19], v[10:11] offset0:17 offset1:199
	ds_write2_b64 v0, v[4:5], v[2:3] offset0:61 offset1:243
	s_waitcnt lgkmcnt(0)
	s_barrier
	s_and_saveexec_b64 s[2:3], s[0:1]
	s_cbranch_execz .LBB0_25
; %bb.24:
	v_lshl_add_u32 v10, v32, 3, v148
	ds_read2_b64 v[2:5], v10 offset1:91
	v_mov_b32_e32 v33, v1
	v_lshl_add_u64 v[6:7], v[32:33], 3, v[30:31]
	v_add_u32_e32 v8, 0x400, v10
	v_add_u32_e32 v0, 0x5b, v32
	s_waitcnt lgkmcnt(0)
	global_store_dwordx2 v[6:7], v[2:3], off
	ds_read2_b64 v[6:9], v8 offset0:54 offset1:145
	v_lshl_add_u64 v[2:3], v[0:1], 3, v[30:31]
	v_add_u32_e32 v0, 0xb6, v32
	global_store_dwordx2 v[2:3], v[4:5], off
	v_lshl_add_u64 v[2:3], v[0:1], 3, v[30:31]
	s_waitcnt lgkmcnt(0)
	global_store_dwordx2 v[2:3], v[6:7], off
	v_add_u32_e32 v2, 0x800, v10
	ds_read2_b64 v[2:5], v2 offset0:108 offset1:199
	v_add_u32_e32 v0, 0x111, v32
	v_lshl_add_u64 v[6:7], v[0:1], 3, v[30:31]
	v_add_u32_e32 v0, 0x16c, v32
	global_store_dwordx2 v[6:7], v[8:9], off
	v_lshl_add_u64 v[6:7], v[0:1], 3, v[30:31]
	s_waitcnt lgkmcnt(0)
	global_store_dwordx2 v[6:7], v[2:3], off
	v_add_u32_e32 v2, 0x1000, v10
	ds_read2_b64 v[6:9], v2 offset0:34 offset1:125
	v_add_u32_e32 v0, 0x1c7, v32
	;; [unrolled: 9-line block ×3, first 2 shown]
	v_lshl_add_u64 v[6:7], v[0:1], 3, v[30:31]
	v_add_u32_e32 v0, 0x2d8, v32
	global_store_dwordx2 v[6:7], v[8:9], off
	v_lshl_add_u64 v[6:7], v[0:1], 3, v[30:31]
	v_add_u32_e32 v0, 0x333, v32
	v_lshl_add_u64 v[0:1], v[0:1], 3, v[30:31]
	s_waitcnt lgkmcnt(0)
	global_store_dwordx2 v[6:7], v[2:3], off
	global_store_dwordx2 v[0:1], v[4:5], off
.LBB0_25:
	s_endpgm
	.section	.rodata,"a",@progbits
	.p2align	6, 0x0
	.amdhsa_kernel fft_rtc_back_len910_factors_13_2_7_5_wgs_182_tpt_91_sp_ip_CI_unitstride_sbrr_C2R_dirReg
		.amdhsa_group_segment_fixed_size 0
		.amdhsa_private_segment_fixed_size 0
		.amdhsa_kernarg_size 88
		.amdhsa_user_sgpr_count 2
		.amdhsa_user_sgpr_dispatch_ptr 0
		.amdhsa_user_sgpr_queue_ptr 0
		.amdhsa_user_sgpr_kernarg_segment_ptr 1
		.amdhsa_user_sgpr_dispatch_id 0
		.amdhsa_user_sgpr_kernarg_preload_length 0
		.amdhsa_user_sgpr_kernarg_preload_offset 0
		.amdhsa_user_sgpr_private_segment_size 0
		.amdhsa_uses_dynamic_stack 0
		.amdhsa_enable_private_segment 0
		.amdhsa_system_sgpr_workgroup_id_x 1
		.amdhsa_system_sgpr_workgroup_id_y 0
		.amdhsa_system_sgpr_workgroup_id_z 0
		.amdhsa_system_sgpr_workgroup_info 0
		.amdhsa_system_vgpr_workitem_id 0
		.amdhsa_next_free_vgpr 174
		.amdhsa_next_free_sgpr 38
		.amdhsa_accum_offset 176
		.amdhsa_reserve_vcc 1
		.amdhsa_float_round_mode_32 0
		.amdhsa_float_round_mode_16_64 0
		.amdhsa_float_denorm_mode_32 3
		.amdhsa_float_denorm_mode_16_64 3
		.amdhsa_dx10_clamp 1
		.amdhsa_ieee_mode 1
		.amdhsa_fp16_overflow 0
		.amdhsa_tg_split 0
		.amdhsa_exception_fp_ieee_invalid_op 0
		.amdhsa_exception_fp_denorm_src 0
		.amdhsa_exception_fp_ieee_div_zero 0
		.amdhsa_exception_fp_ieee_overflow 0
		.amdhsa_exception_fp_ieee_underflow 0
		.amdhsa_exception_fp_ieee_inexact 0
		.amdhsa_exception_int_div_zero 0
	.end_amdhsa_kernel
	.text
.Lfunc_end0:
	.size	fft_rtc_back_len910_factors_13_2_7_5_wgs_182_tpt_91_sp_ip_CI_unitstride_sbrr_C2R_dirReg, .Lfunc_end0-fft_rtc_back_len910_factors_13_2_7_5_wgs_182_tpt_91_sp_ip_CI_unitstride_sbrr_C2R_dirReg
                                        ; -- End function
	.section	.AMDGPU.csdata,"",@progbits
; Kernel info:
; codeLenInByte = 9292
; NumSgprs: 44
; NumVgprs: 174
; NumAgprs: 0
; TotalNumVgprs: 174
; ScratchSize: 0
; MemoryBound: 0
; FloatMode: 240
; IeeeMode: 1
; LDSByteSize: 0 bytes/workgroup (compile time only)
; SGPRBlocks: 5
; VGPRBlocks: 21
; NumSGPRsForWavesPerEU: 44
; NumVGPRsForWavesPerEU: 174
; AccumOffset: 176
; Occupancy: 2
; WaveLimiterHint : 1
; COMPUTE_PGM_RSRC2:SCRATCH_EN: 0
; COMPUTE_PGM_RSRC2:USER_SGPR: 2
; COMPUTE_PGM_RSRC2:TRAP_HANDLER: 0
; COMPUTE_PGM_RSRC2:TGID_X_EN: 1
; COMPUTE_PGM_RSRC2:TGID_Y_EN: 0
; COMPUTE_PGM_RSRC2:TGID_Z_EN: 0
; COMPUTE_PGM_RSRC2:TIDIG_COMP_CNT: 0
; COMPUTE_PGM_RSRC3_GFX90A:ACCUM_OFFSET: 43
; COMPUTE_PGM_RSRC3_GFX90A:TG_SPLIT: 0
	.text
	.p2alignl 6, 3212836864
	.fill 256, 4, 3212836864
	.type	__hip_cuid_b131e574682cb903,@object ; @__hip_cuid_b131e574682cb903
	.section	.bss,"aw",@nobits
	.globl	__hip_cuid_b131e574682cb903
__hip_cuid_b131e574682cb903:
	.byte	0                               ; 0x0
	.size	__hip_cuid_b131e574682cb903, 1

	.ident	"AMD clang version 19.0.0git (https://github.com/RadeonOpenCompute/llvm-project roc-6.4.0 25133 c7fe45cf4b819c5991fe208aaa96edf142730f1d)"
	.section	".note.GNU-stack","",@progbits
	.addrsig
	.addrsig_sym __hip_cuid_b131e574682cb903
	.amdgpu_metadata
---
amdhsa.kernels:
  - .agpr_count:     0
    .args:
      - .actual_access:  read_only
        .address_space:  global
        .offset:         0
        .size:           8
        .value_kind:     global_buffer
      - .offset:         8
        .size:           8
        .value_kind:     by_value
      - .actual_access:  read_only
        .address_space:  global
        .offset:         16
        .size:           8
        .value_kind:     global_buffer
      - .actual_access:  read_only
        .address_space:  global
        .offset:         24
        .size:           8
        .value_kind:     global_buffer
      - .offset:         32
        .size:           8
        .value_kind:     by_value
      - .actual_access:  read_only
        .address_space:  global
        .offset:         40
        .size:           8
        .value_kind:     global_buffer
      - .actual_access:  read_only
        .address_space:  global
        .offset:         48
        .size:           8
        .value_kind:     global_buffer
      - .offset:         56
        .size:           4
        .value_kind:     by_value
      - .actual_access:  read_only
        .address_space:  global
        .offset:         64
        .size:           8
        .value_kind:     global_buffer
      - .actual_access:  read_only
        .address_space:  global
        .offset:         72
        .size:           8
        .value_kind:     global_buffer
      - .address_space:  global
        .offset:         80
        .size:           8
        .value_kind:     global_buffer
    .group_segment_fixed_size: 0
    .kernarg_segment_align: 8
    .kernarg_segment_size: 88
    .language:       OpenCL C
    .language_version:
      - 2
      - 0
    .max_flat_workgroup_size: 182
    .name:           fft_rtc_back_len910_factors_13_2_7_5_wgs_182_tpt_91_sp_ip_CI_unitstride_sbrr_C2R_dirReg
    .private_segment_fixed_size: 0
    .sgpr_count:     44
    .sgpr_spill_count: 0
    .symbol:         fft_rtc_back_len910_factors_13_2_7_5_wgs_182_tpt_91_sp_ip_CI_unitstride_sbrr_C2R_dirReg.kd
    .uniform_work_group_size: 1
    .uses_dynamic_stack: false
    .vgpr_count:     174
    .vgpr_spill_count: 0
    .wavefront_size: 64
amdhsa.target:   amdgcn-amd-amdhsa--gfx950
amdhsa.version:
  - 1
  - 2
...

	.end_amdgpu_metadata
